;; amdgpu-corpus repo=pytorch/pytorch kind=compiled arch=gfx950 opt=O3
	.amdgcn_target "amdgcn-amd-amdhsa--gfx950"
	.amdhsa_code_object_version 6
	.section	.text._ZN7rocprim17ROCPRIM_304000_NS6detail28radix_sort_block_sort_kernelINS1_36wrapped_radix_sort_block_sort_configINS0_13kernel_configILj256ELj4ELj4294967295EEEiN2at4cuda3cub6detail10OpaqueTypeILi1EEEEELb1EPKiPiPKSB_PSB_NS0_19identity_decomposerEEEvT1_T2_T3_T4_jT5_jj,"axG",@progbits,_ZN7rocprim17ROCPRIM_304000_NS6detail28radix_sort_block_sort_kernelINS1_36wrapped_radix_sort_block_sort_configINS0_13kernel_configILj256ELj4ELj4294967295EEEiN2at4cuda3cub6detail10OpaqueTypeILi1EEEEELb1EPKiPiPKSB_PSB_NS0_19identity_decomposerEEEvT1_T2_T3_T4_jT5_jj,comdat
	.protected	_ZN7rocprim17ROCPRIM_304000_NS6detail28radix_sort_block_sort_kernelINS1_36wrapped_radix_sort_block_sort_configINS0_13kernel_configILj256ELj4ELj4294967295EEEiN2at4cuda3cub6detail10OpaqueTypeILi1EEEEELb1EPKiPiPKSB_PSB_NS0_19identity_decomposerEEEvT1_T2_T3_T4_jT5_jj ; -- Begin function _ZN7rocprim17ROCPRIM_304000_NS6detail28radix_sort_block_sort_kernelINS1_36wrapped_radix_sort_block_sort_configINS0_13kernel_configILj256ELj4ELj4294967295EEEiN2at4cuda3cub6detail10OpaqueTypeILi1EEEEELb1EPKiPiPKSB_PSB_NS0_19identity_decomposerEEEvT1_T2_T3_T4_jT5_jj
	.globl	_ZN7rocprim17ROCPRIM_304000_NS6detail28radix_sort_block_sort_kernelINS1_36wrapped_radix_sort_block_sort_configINS0_13kernel_configILj256ELj4ELj4294967295EEEiN2at4cuda3cub6detail10OpaqueTypeILi1EEEEELb1EPKiPiPKSB_PSB_NS0_19identity_decomposerEEEvT1_T2_T3_T4_jT5_jj
	.p2align	8
	.type	_ZN7rocprim17ROCPRIM_304000_NS6detail28radix_sort_block_sort_kernelINS1_36wrapped_radix_sort_block_sort_configINS0_13kernel_configILj256ELj4ELj4294967295EEEiN2at4cuda3cub6detail10OpaqueTypeILi1EEEEELb1EPKiPiPKSB_PSB_NS0_19identity_decomposerEEEvT1_T2_T3_T4_jT5_jj,@function
_ZN7rocprim17ROCPRIM_304000_NS6detail28radix_sort_block_sort_kernelINS1_36wrapped_radix_sort_block_sort_configINS0_13kernel_configILj256ELj4ELj4294967295EEEiN2at4cuda3cub6detail10OpaqueTypeILi1EEEEELb1EPKiPiPKSB_PSB_NS0_19identity_decomposerEEEvT1_T2_T3_T4_jT5_jj: ; @_ZN7rocprim17ROCPRIM_304000_NS6detail28radix_sort_block_sort_kernelINS1_36wrapped_radix_sort_block_sort_configINS0_13kernel_configILj256ELj4ELj4294967295EEEiN2at4cuda3cub6detail10OpaqueTypeILi1EEEEELb1EPKiPiPKSB_PSB_NS0_19identity_decomposerEEEvT1_T2_T3_T4_jT5_jj
; %bb.0:
	s_load_dword s4, s[0:1], 0x20
	s_load_dwordx8 s[36:43], s[0:1], 0x0
	s_lshl_b32 s28, s2, 10
	s_mov_b32 s29, 0
	v_and_b32_e32 v6, 0x3ff, v0
	s_waitcnt lgkmcnt(0)
	s_lshr_b32 s3, s4, 10
	s_cmp_lg_u32 s2, s3
	s_cselect_b64 s[30:31], -1, 0
	s_lshl_b64 s[34:35], s[28:29], 2
	v_mbcnt_lo_u32_b32 v1, -1, 0
	s_add_u32 s6, s36, s34
	v_mbcnt_hi_u32_b32 v10, -1, v1
	v_lshlrev_b32_e32 v8, 2, v6
	v_mov_b32_e32 v11, 0
	s_addc_u32 s7, s37, s35
	v_and_b32_e32 v12, 0x300, v8
	v_lshlrev_b32_e32 v2, 2, v10
	v_mov_b32_e32 v3, v11
	v_lshl_add_u64 v[2:3], s[6:7], 0, v[2:3]
	v_lshlrev_b32_e32 v4, 2, v12
	v_mov_b32_e32 v5, v11
	s_cmp_eq_u32 s2, s3
	v_mov_b32_e32 v13, v11
	v_lshl_add_u64 v[14:15], v[2:3], 0, v[4:5]
	v_add_u32_e32 v1, v10, v12
	s_cbranch_scc1 .LBB0_2
; %bb.1:
	s_add_u32 s2, s40, s28
	s_addc_u32 s3, s41, 0
	v_lshl_add_u64 v[16:17], s[2:3], 0, v[10:11]
	v_lshl_add_u64 v[16:17], v[16:17], 0, v[12:13]
	global_load_dword v2, v[14:15], off
	global_load_dword v3, v[14:15], off offset:256
	global_load_dword v4, v[14:15], off offset:512
	;; [unrolled: 1-line block ×3, first 2 shown]
	global_load_ubyte v41, v[16:17], off
	global_load_ubyte v42, v[16:17], off offset:64
	global_load_ubyte v43, v[16:17], off offset:128
	;; [unrolled: 1-line block ×3, first 2 shown]
	v_add_u32_e32 v17, v10, v12
	v_add_u32_e32 v7, 64, v17
	;; [unrolled: 1-line block ×4, first 2 shown]
	s_sub_i32 s29, s4, s28
	s_cbranch_execz .LBB0_3
	s_branch .LBB0_17
.LBB0_2:
                                        ; implicit-def: $vgpr2_vgpr3_vgpr4_vgpr5
                                        ; implicit-def: $vgpr41
                                        ; implicit-def: $vgpr42
                                        ; implicit-def: $vgpr43
                                        ; implicit-def: $vgpr44
                                        ; implicit-def: $vgpr17
                                        ; implicit-def: $vgpr7
                                        ; implicit-def: $vgpr9
                                        ; implicit-def: $vgpr16
	s_sub_i32 s29, s4, s28
.LBB0_3:
	s_waitcnt vmcnt(7)
	v_bfrev_b32_e32 v2, 1
	v_cmp_gt_u32_e32 vcc, s29, v1
	s_waitcnt vmcnt(6)
	v_mov_b32_e32 v3, v2
	s_waitcnt vmcnt(5)
	v_mov_b32_e32 v4, v2
	s_waitcnt vmcnt(4)
	v_mov_b32_e32 v5, v2
	s_and_saveexec_b64 s[2:3], vcc
	s_cbranch_execz .LBB0_5
; %bb.4:
	global_load_dword v16, v[14:15], off
	v_mov_b32_e32 v17, v2
	v_mov_b32_e32 v18, v2
	;; [unrolled: 1-line block ×3, first 2 shown]
	s_waitcnt vmcnt(0)
	v_mov_b64_e32 v[2:3], v[16:17]
	v_mov_b64_e32 v[4:5], v[18:19]
.LBB0_5:
	s_or_b64 exec, exec, s[2:3]
	v_add_u32_e32 v7, 64, v1
	v_cmp_gt_u32_e64 s[2:3], s29, v7
	s_and_saveexec_b64 s[4:5], s[2:3]
	s_cbranch_execz .LBB0_7
; %bb.6:
	global_load_dword v3, v[14:15], off offset:256
.LBB0_7:
	s_or_b64 exec, exec, s[4:5]
	v_add_u32_e32 v9, 0x80, v1
	v_cmp_gt_u32_e64 s[4:5], s29, v9
	s_and_saveexec_b64 s[6:7], s[4:5]
	s_cbranch_execz .LBB0_9
; %bb.8:
	global_load_dword v4, v[14:15], off offset:512
.LBB0_9:
	;; [unrolled: 8-line block ×3, first 2 shown]
	s_or_b64 exec, exec, s[8:9]
	s_add_u32 s8, s40, s28
	s_addc_u32 s9, s41, 0
	v_lshl_add_u64 v[14:15], s[8:9], 0, v[10:11]
	v_lshl_add_u64 v[12:13], v[14:15], 0, v[12:13]
                                        ; implicit-def: $vgpr41
	s_and_saveexec_b64 s[8:9], vcc
	s_cbranch_execnz .LBB0_54
; %bb.12:
	s_or_b64 exec, exec, s[8:9]
                                        ; implicit-def: $vgpr42
	s_and_saveexec_b64 s[8:9], s[2:3]
	s_cbranch_execnz .LBB0_55
.LBB0_13:
	s_or_b64 exec, exec, s[8:9]
                                        ; implicit-def: $vgpr43
	s_and_saveexec_b64 s[2:3], s[4:5]
	s_cbranch_execnz .LBB0_56
.LBB0_14:
	s_or_b64 exec, exec, s[2:3]
                                        ; implicit-def: $vgpr44
	s_and_saveexec_b64 s[2:3], s[6:7]
	s_cbranch_execz .LBB0_16
.LBB0_15:
	global_load_ubyte v44, v[12:13], off offset:192
.LBB0_16:
	s_or_b64 exec, exec, s[2:3]
	v_mov_b32_e32 v17, v1
.LBB0_17:
	s_load_dwordx2 s[36:37], s[0:1], 0x28
	s_waitcnt vmcnt(7)
	v_xor_b32_e32 v1, 0x7fffffff, v2
	s_load_dword s0, s[0:1], 0x3c
	s_waitcnt vmcnt(0)
	v_xor_b32_e32 v2, 0x7fffffff, v3
	v_xor_b32_e32 v3, 0x7fffffff, v4
	v_bfe_u32 v4, v0, 10, 10
	v_bfe_u32 v0, v0, 20, 10
	s_waitcnt lgkmcnt(0)
	s_lshr_b32 s1, s0, 16
	s_and_b32 s0, s0, 0xffff
	v_mad_u32_u24 v0, v0, s1, v4
	v_xor_b32_e32 v12, 0x7fffffff, v5
	v_mad_u64_u32 v[4:5], s[0:1], v0, s0, v[6:7]
	v_lshrrev_b32_e32 v0, 4, v4
	v_and_b32_e32 v15, 0xffffffc, v0
	v_and_b32_e32 v0, 15, v10
	v_cmp_eq_u32_e64 s[0:1], 0, v0
	v_cmp_lt_u32_e64 s[2:3], 1, v0
	v_cmp_lt_u32_e64 s[4:5], 3, v0
	;; [unrolled: 1-line block ×3, first 2 shown]
	v_and_b32_e32 v0, 16, v10
	v_cmp_eq_u32_e64 s[8:9], 0, v0
	v_and_b32_e32 v0, 0x3c0, v6
	v_min_u32_e32 v0, 0xc0, v0
	v_or_b32_e32 v0, 63, v0
	v_cmp_eq_u32_e64 s[12:13], v6, v0
	v_subrev_co_u32_e64 v0, s[18:19], 1, v10
	v_and_b32_e32 v4, 64, v10
	v_cmp_lt_i32_e32 vcc, v0, v4
	s_mov_b32 s26, 0
	s_mov_b32 s27, s26
	v_cndmask_b32_e32 v0, v0, v10, vcc
	v_lshlrev_b32_e32 v19, 2, v0
	v_lshrrev_b32_e32 v0, 4, v6
	v_and_b32_e32 v20, 60, v0
	v_and_b32_e32 v0, 3, v10
	s_mov_b32 s40, s26
	s_mov_b32 s41, s26
	s_add_i32 s33, s37, s36
	v_lshlrev_b32_e32 v14, 2, v8
	v_cmp_lt_u32_e64 s[10:11], 31, v10
	v_cmp_gt_u32_e64 s[14:15], 4, v6
	v_cmp_lt_u32_e64 s[16:17], 63, v6
	v_cmp_eq_u32_e64 s[20:21], 0, v6
	v_mul_i32_i24_e32 v18, -12, v6
	v_cmp_eq_u32_e64 s[22:23], 0, v0
	v_cmp_lt_u32_e64 s[24:25], 1, v0
	v_add_u32_e32 v21, -4, v20
	v_lshlrev_b32_e32 v22, 2, v17
	v_lshlrev_b32_e32 v23, 2, v7
	;; [unrolled: 1-line block ×4, first 2 shown]
	v_mov_b64_e32 v[4:5], s[26:27]
	v_mov_b64_e32 v[10:11], s[40:41]
	v_mov_b32_e32 v13, 0
	s_branch .LBB0_19
.LBB0_18:                               ;   in Loop: Header=BB0_19 Depth=1
	s_andn2_b64 vcc, exec, s[26:27]
	s_mov_b32 s37, s40
	s_cbranch_vccz .LBB0_35
.LBB0_19:                               ; =>This Inner Loop Header: Depth=1
	v_mov_b32_e32 v33, v1
	s_min_u32 s26, s37, 8
	s_lshl_b32 s40, -1, s26
	v_lshrrev_b32_e32 v0, s36, v33
	v_mov_b32_e32 v32, v2
	v_bitop3_b32 v2, v0, s40, v0 bitop3:0x30
	v_mov_b32_e32 v30, v12
	v_and_b32_e32 v12, 1, v2
	v_lshl_add_u64 v[0:1], v[12:13], 0, -1
	v_cmp_ne_u32_e32 vcc, 0, v12
	v_mov_b32_e32 v31, v3
	v_lshlrev_b32_e32 v3, 4, v2
	v_xor_b32_e32 v1, vcc_hi, v1
	v_xor_b32_e32 v0, vcc_lo, v0
	v_and_b32_e32 v12, exec_hi, v1
	v_and_b32_e32 v34, exec_lo, v0
	v_lshlrev_b32_e32 v1, 30, v2
	v_mov_b32_e32 v0, v13
	v_cmp_gt_i64_e32 vcc, 0, v[0:1]
	v_not_b32_e32 v0, v1
	v_ashrrev_i32_e32 v0, 31, v0
	v_xor_b32_e32 v1, vcc_hi, v0
	v_xor_b32_e32 v0, vcc_lo, v0
	v_and_b32_e32 v12, v12, v1
	v_and_b32_e32 v34, v34, v0
	v_lshlrev_b32_e32 v1, 29, v2
	v_mov_b32_e32 v0, v13
	v_cmp_gt_i64_e32 vcc, 0, v[0:1]
	v_not_b32_e32 v0, v1
	v_ashrrev_i32_e32 v0, 31, v0
	v_xor_b32_e32 v1, vcc_hi, v0
	v_xor_b32_e32 v0, vcc_lo, v0
	v_and_b32_e32 v12, v12, v1
	v_and_b32_e32 v34, v34, v0
	;; [unrolled: 9-line block ×7, first 2 shown]
	v_mbcnt_lo_u32_b32 v2, v0, 0
	v_mbcnt_hi_u32_b32 v34, v1, v2
	v_cmp_eq_u32_e32 vcc, 0, v34
	v_cmp_ne_u64_e64 s[26:27], 0, v[0:1]
	v_mov_b32_e32 v29, v41
	v_mov_b32_e32 v28, v42
	;; [unrolled: 1-line block ×4, first 2 shown]
	s_and_b64 s[44:45], s[26:27], vcc
	v_add_u32_e32 v35, v15, v3
	ds_write2_b64 v14, v[4:5], v[10:11] offset0:2 offset1:3
	s_waitcnt lgkmcnt(0)
	s_barrier
	; wave barrier
	s_and_saveexec_b64 s[26:27], s[44:45]
; %bb.20:                               ;   in Loop: Header=BB0_19 Depth=1
	v_bcnt_u32_b32 v0, v0, 0
	v_bcnt_u32_b32 v0, v1, v0
	ds_write_b32 v35, v0 offset:16
; %bb.21:                               ;   in Loop: Header=BB0_19 Depth=1
	s_or_b64 exec, exec, s[26:27]
	s_not_b32 s40, s40
	v_lshrrev_b32_e32 v0, s36, v32
	v_and_b32_e32 v2, s40, v0
	v_lshlrev_b32_e32 v0, 4, v2
	v_and_b32_e32 v12, 1, v2
	v_add_u32_e32 v37, v15, v0
	v_lshl_add_u64 v[0:1], v[12:13], 0, -1
	v_cmp_ne_u32_e32 vcc, 0, v12
	; wave barrier
	s_nop 1
	v_xor_b32_e32 v1, vcc_hi, v1
	v_xor_b32_e32 v0, vcc_lo, v0
	v_and_b32_e32 v3, exec_hi, v1
	v_and_b32_e32 v12, exec_lo, v0
	v_lshlrev_b32_e32 v1, 30, v2
	v_mov_b32_e32 v0, v13
	v_cmp_gt_i64_e32 vcc, 0, v[0:1]
	v_not_b32_e32 v0, v1
	v_ashrrev_i32_e32 v0, 31, v0
	v_xor_b32_e32 v1, vcc_hi, v0
	v_xor_b32_e32 v0, vcc_lo, v0
	v_and_b32_e32 v3, v3, v1
	v_and_b32_e32 v12, v12, v0
	v_lshlrev_b32_e32 v1, 29, v2
	v_mov_b32_e32 v0, v13
	v_cmp_gt_i64_e32 vcc, 0, v[0:1]
	v_not_b32_e32 v0, v1
	v_ashrrev_i32_e32 v0, 31, v0
	v_xor_b32_e32 v1, vcc_hi, v0
	v_xor_b32_e32 v0, vcc_lo, v0
	v_and_b32_e32 v3, v3, v1
	v_and_b32_e32 v12, v12, v0
	;; [unrolled: 9-line block ×6, first 2 shown]
	v_lshlrev_b32_e32 v1, 24, v2
	v_mov_b32_e32 v0, v13
	v_cmp_gt_i64_e32 vcc, 0, v[0:1]
	v_not_b32_e32 v0, v1
	v_ashrrev_i32_e32 v0, 31, v0
	v_xor_b32_e32 v1, vcc_hi, v0
	v_xor_b32_e32 v0, vcc_lo, v0
	ds_read_b32 v36, v37 offset:16
	v_and_b32_e32 v0, v12, v0
	v_and_b32_e32 v1, v3, v1
	v_mbcnt_lo_u32_b32 v2, v0, 0
	v_mbcnt_hi_u32_b32 v38, v1, v2
	v_cmp_eq_u32_e32 vcc, 0, v38
	v_cmp_ne_u64_e64 s[26:27], 0, v[0:1]
	s_and_b64 s[44:45], s[26:27], vcc
	; wave barrier
	s_and_saveexec_b64 s[26:27], s[44:45]
	s_cbranch_execz .LBB0_23
; %bb.22:                               ;   in Loop: Header=BB0_19 Depth=1
	v_bcnt_u32_b32 v0, v0, 0
	v_bcnt_u32_b32 v0, v1, v0
	s_waitcnt lgkmcnt(0)
	v_add_u32_e32 v0, v36, v0
	ds_write_b32 v37, v0 offset:16
.LBB0_23:                               ;   in Loop: Header=BB0_19 Depth=1
	s_or_b64 exec, exec, s[26:27]
	v_lshrrev_b32_e32 v0, s36, v31
	v_and_b32_e32 v2, s40, v0
	v_lshlrev_b32_e32 v0, 4, v2
	v_and_b32_e32 v12, 1, v2
	v_add_u32_e32 v40, v15, v0
	v_lshl_add_u64 v[0:1], v[12:13], 0, -1
	v_cmp_ne_u32_e32 vcc, 0, v12
	; wave barrier
	s_nop 1
	v_xor_b32_e32 v1, vcc_hi, v1
	v_xor_b32_e32 v0, vcc_lo, v0
	v_and_b32_e32 v3, exec_hi, v1
	v_and_b32_e32 v12, exec_lo, v0
	v_lshlrev_b32_e32 v1, 30, v2
	v_mov_b32_e32 v0, v13
	v_cmp_gt_i64_e32 vcc, 0, v[0:1]
	v_not_b32_e32 v0, v1
	v_ashrrev_i32_e32 v0, 31, v0
	v_xor_b32_e32 v1, vcc_hi, v0
	v_xor_b32_e32 v0, vcc_lo, v0
	v_and_b32_e32 v3, v3, v1
	v_and_b32_e32 v12, v12, v0
	v_lshlrev_b32_e32 v1, 29, v2
	v_mov_b32_e32 v0, v13
	v_cmp_gt_i64_e32 vcc, 0, v[0:1]
	v_not_b32_e32 v0, v1
	v_ashrrev_i32_e32 v0, 31, v0
	v_xor_b32_e32 v1, vcc_hi, v0
	v_xor_b32_e32 v0, vcc_lo, v0
	v_and_b32_e32 v3, v3, v1
	v_and_b32_e32 v12, v12, v0
	;; [unrolled: 9-line block ×6, first 2 shown]
	v_lshlrev_b32_e32 v1, 24, v2
	v_mov_b32_e32 v0, v13
	v_cmp_gt_i64_e32 vcc, 0, v[0:1]
	v_not_b32_e32 v0, v1
	v_ashrrev_i32_e32 v0, 31, v0
	v_xor_b32_e32 v1, vcc_hi, v0
	v_xor_b32_e32 v0, vcc_lo, v0
	ds_read_b32 v39, v40 offset:16
	v_and_b32_e32 v0, v12, v0
	v_and_b32_e32 v1, v3, v1
	v_mbcnt_lo_u32_b32 v2, v0, 0
	v_mbcnt_hi_u32_b32 v41, v1, v2
	v_cmp_eq_u32_e32 vcc, 0, v41
	v_cmp_ne_u64_e64 s[26:27], 0, v[0:1]
	s_and_b64 s[44:45], s[26:27], vcc
	; wave barrier
	s_and_saveexec_b64 s[26:27], s[44:45]
	s_cbranch_execz .LBB0_25
; %bb.24:                               ;   in Loop: Header=BB0_19 Depth=1
	v_bcnt_u32_b32 v0, v0, 0
	v_bcnt_u32_b32 v0, v1, v0
	s_waitcnt lgkmcnt(0)
	v_add_u32_e32 v0, v39, v0
	ds_write_b32 v40, v0 offset:16
.LBB0_25:                               ;   in Loop: Header=BB0_19 Depth=1
	s_or_b64 exec, exec, s[26:27]
	v_lshrrev_b32_e32 v0, s36, v30
	v_and_b32_e32 v2, s40, v0
	v_lshlrev_b32_e32 v0, 4, v2
	v_and_b32_e32 v12, 1, v2
	v_add_u32_e32 v43, v15, v0
	v_lshl_add_u64 v[0:1], v[12:13], 0, -1
	v_cmp_ne_u32_e32 vcc, 0, v12
	; wave barrier
	s_nop 1
	v_xor_b32_e32 v1, vcc_hi, v1
	v_xor_b32_e32 v0, vcc_lo, v0
	v_and_b32_e32 v3, exec_hi, v1
	v_and_b32_e32 v12, exec_lo, v0
	v_lshlrev_b32_e32 v1, 30, v2
	v_mov_b32_e32 v0, v13
	v_cmp_gt_i64_e32 vcc, 0, v[0:1]
	v_not_b32_e32 v0, v1
	v_ashrrev_i32_e32 v0, 31, v0
	v_xor_b32_e32 v1, vcc_hi, v0
	v_xor_b32_e32 v0, vcc_lo, v0
	v_and_b32_e32 v3, v3, v1
	v_and_b32_e32 v12, v12, v0
	v_lshlrev_b32_e32 v1, 29, v2
	v_mov_b32_e32 v0, v13
	v_cmp_gt_i64_e32 vcc, 0, v[0:1]
	v_not_b32_e32 v0, v1
	v_ashrrev_i32_e32 v0, 31, v0
	v_xor_b32_e32 v1, vcc_hi, v0
	v_xor_b32_e32 v0, vcc_lo, v0
	v_and_b32_e32 v3, v3, v1
	v_and_b32_e32 v12, v12, v0
	;; [unrolled: 9-line block ×6, first 2 shown]
	v_lshlrev_b32_e32 v1, 24, v2
	v_mov_b32_e32 v0, v13
	v_cmp_gt_i64_e32 vcc, 0, v[0:1]
	v_not_b32_e32 v0, v1
	v_ashrrev_i32_e32 v0, 31, v0
	v_xor_b32_e32 v1, vcc_hi, v0
	v_xor_b32_e32 v0, vcc_lo, v0
	ds_read_b32 v42, v43 offset:16
	v_and_b32_e32 v0, v12, v0
	v_and_b32_e32 v1, v3, v1
	v_mbcnt_lo_u32_b32 v2, v0, 0
	v_mbcnt_hi_u32_b32 v12, v1, v2
	v_cmp_eq_u32_e32 vcc, 0, v12
	v_cmp_ne_u64_e64 s[26:27], 0, v[0:1]
	s_and_b64 s[40:41], s[26:27], vcc
	; wave barrier
	s_and_saveexec_b64 s[26:27], s[40:41]
	s_cbranch_execz .LBB0_27
; %bb.26:                               ;   in Loop: Header=BB0_19 Depth=1
	v_bcnt_u32_b32 v0, v0, 0
	v_bcnt_u32_b32 v0, v1, v0
	s_waitcnt lgkmcnt(0)
	v_add_u32_e32 v0, v42, v0
	ds_write_b32 v43, v0 offset:16
.LBB0_27:                               ;   in Loop: Header=BB0_19 Depth=1
	s_or_b64 exec, exec, s[26:27]
	; wave barrier
	s_waitcnt lgkmcnt(0)
	s_barrier
	ds_read2_b64 v[0:3], v14 offset0:2 offset1:3
	s_waitcnt lgkmcnt(0)
	v_add_u32_e32 v44, v1, v0
	v_add3_u32 v3, v44, v2, v3
	s_nop 1
	v_mov_b32_dpp v44, v3 row_shr:1 row_mask:0xf bank_mask:0xf
	v_cndmask_b32_e64 v44, v44, 0, s[0:1]
	v_add_u32_e32 v3, v44, v3
	s_nop 1
	v_mov_b32_dpp v44, v3 row_shr:2 row_mask:0xf bank_mask:0xf
	v_cndmask_b32_e64 v44, 0, v44, s[2:3]
	v_add_u32_e32 v3, v3, v44
	s_nop 1
	v_mov_b32_dpp v44, v3 row_shr:4 row_mask:0xf bank_mask:0xf
	v_cndmask_b32_e64 v44, 0, v44, s[4:5]
	v_add_u32_e32 v3, v3, v44
	s_nop 1
	v_mov_b32_dpp v44, v3 row_shr:8 row_mask:0xf bank_mask:0xf
	v_cndmask_b32_e64 v44, 0, v44, s[6:7]
	v_add_u32_e32 v3, v3, v44
	s_nop 1
	v_mov_b32_dpp v44, v3 row_bcast:15 row_mask:0xf bank_mask:0xf
	v_cndmask_b32_e64 v44, v44, 0, s[8:9]
	v_add_u32_e32 v3, v3, v44
	s_nop 1
	v_mov_b32_dpp v44, v3 row_bcast:31 row_mask:0xf bank_mask:0xf
	v_cndmask_b32_e64 v44, 0, v44, s[10:11]
	v_add_u32_e32 v3, v3, v44
	s_and_saveexec_b64 s[26:27], s[12:13]
; %bb.28:                               ;   in Loop: Header=BB0_19 Depth=1
	ds_write_b32 v20, v3
; %bb.29:                               ;   in Loop: Header=BB0_19 Depth=1
	s_or_b64 exec, exec, s[26:27]
	s_waitcnt lgkmcnt(0)
	s_barrier
	s_and_saveexec_b64 s[26:27], s[14:15]
	s_cbranch_execz .LBB0_31
; %bb.30:                               ;   in Loop: Header=BB0_19 Depth=1
	v_add_u32_e32 v44, v14, v18
	ds_read_b32 v45, v44
	s_waitcnt lgkmcnt(0)
	s_nop 0
	v_mov_b32_dpp v46, v45 row_shr:1 row_mask:0xf bank_mask:0xf
	v_cndmask_b32_e64 v46, v46, 0, s[22:23]
	v_add_u32_e32 v45, v46, v45
	s_nop 1
	v_mov_b32_dpp v46, v45 row_shr:2 row_mask:0xf bank_mask:0xf
	v_cndmask_b32_e64 v46, 0, v46, s[24:25]
	v_add_u32_e32 v45, v45, v46
	ds_write_b32 v44, v45
.LBB0_31:                               ;   in Loop: Header=BB0_19 Depth=1
	s_or_b64 exec, exec, s[26:27]
	v_mov_b32_e32 v44, 0
	s_waitcnt lgkmcnt(0)
	s_barrier
	s_and_saveexec_b64 s[26:27], s[16:17]
; %bb.32:                               ;   in Loop: Header=BB0_19 Depth=1
	ds_read_b32 v44, v21
; %bb.33:                               ;   in Loop: Header=BB0_19 Depth=1
	s_or_b64 exec, exec, s[26:27]
	s_waitcnt lgkmcnt(0)
	v_add_u32_e32 v3, v44, v3
	ds_bpermute_b32 v3, v19, v3
	s_add_i32 s36, s36, 8
	s_cmp_ge_u32 s36, s33
	s_mov_b64 s[26:27], -1
	s_waitcnt lgkmcnt(0)
	v_cndmask_b32_e64 v3, v3, v44, s[18:19]
	v_cndmask_b32_e64 v44, v3, 0, s[20:21]
	v_add_u32_e32 v45, v44, v0
	v_add_u32_e32 v0, v45, v1
	;; [unrolled: 1-line block ×3, first 2 shown]
	ds_write2_b64 v14, v[44:45], v[0:1] offset0:2 offset1:3
	s_waitcnt lgkmcnt(0)
	s_barrier
	ds_read_b32 v0, v35 offset:16
	ds_read_b32 v1, v37 offset:16
	ds_read_b32 v2, v40 offset:16
	ds_read_b32 v3, v43 offset:16
	s_waitcnt lgkmcnt(0)
	v_add_u32_e32 v0, v0, v34
	v_add3_u32 v34, v38, v36, v1
	v_add3_u32 v35, v41, v39, v2
	;; [unrolled: 1-line block ×3, first 2 shown]
	v_lshlrev_b32_e32 v37, 2, v0
	v_lshlrev_b32_e32 v38, 2, v34
	;; [unrolled: 1-line block ×4, first 2 shown]
	v_readfirstlane_b32 s40, v0
                                        ; implicit-def: $vgpr12
                                        ; implicit-def: $vgpr3
                                        ; implicit-def: $vgpr2
                                        ; implicit-def: $vgpr1
                                        ; implicit-def: $vgpr41
                                        ; implicit-def: $vgpr42
                                        ; implicit-def: $vgpr43
                                        ; implicit-def: $vgpr44
	s_cbranch_scc1 .LBB0_18
; %bb.34:                               ;   in Loop: Header=BB0_19 Depth=1
	s_barrier
	ds_write_b32 v37, v33
	ds_write_b32 v38, v32
	;; [unrolled: 1-line block ×4, first 2 shown]
	s_waitcnt lgkmcnt(0)
	s_barrier
	ds_read_b32 v1, v22
	ds_read_b32 v2, v23
	;; [unrolled: 1-line block ×4, first 2 shown]
	s_waitcnt lgkmcnt(0)
	s_barrier
	ds_write_b8 v0, v29
	ds_write_b8 v34, v28
	;; [unrolled: 1-line block ×4, first 2 shown]
	s_waitcnt lgkmcnt(0)
	s_barrier
	ds_read_u8 v41, v17
	ds_read_u8 v42, v7
	;; [unrolled: 1-line block ×4, first 2 shown]
	s_add_i32 s40, s37, -8
	s_mov_b64 s[26:27], 0
	s_waitcnt lgkmcnt(0)
	s_barrier
	s_branch .LBB0_18
.LBB0_35:
	v_add_u32_e32 v1, v14, v18
	s_barrier
	ds_write_b32 v37, v33
	ds_write_b32 v38, v32
	;; [unrolled: 1-line block ×4, first 2 shown]
	s_waitcnt lgkmcnt(0)
	s_barrier
	ds_read2st64_b32 v[10:11], v1 offset1:4
	ds_read2st64_b32 v[14:15], v1 offset0:8 offset1:12
	s_waitcnt lgkmcnt(0)
	s_barrier
	ds_write_b8 v0, v29
	ds_write_b8 v34, v28
	;; [unrolled: 1-line block ×4, first 2 shown]
	s_waitcnt lgkmcnt(0)
	s_barrier
	ds_read_u8 v5, v6
	ds_read_u8 v4, v6 offset:256
	ds_read_u8 v3, v6 offset:512
	;; [unrolled: 1-line block ×3, first 2 shown]
	s_add_u32 s0, s38, s34
	v_mov_b32_e32 v7, 0
	s_addc_u32 s1, s39, s35
	v_mov_b32_e32 v9, v7
	v_xor_b32_e32 v13, 0x7fffffff, v10
	v_xor_b32_e32 v12, 0x7fffffff, v11
	;; [unrolled: 1-line block ×4, first 2 shown]
	s_andn2_b64 vcc, exec, s[30:31]
	v_lshl_add_u64 v[0:1], s[0:1], 0, v[8:9]
	s_cbranch_vccnz .LBB0_37
; %bb.36:
	s_add_u32 s0, s42, s28
	s_addc_u32 s1, s43, 0
	v_lshl_add_u64 v[8:9], s[0:1], 0, v[6:7]
	s_mov_b64 s[4:5], -1
	global_store_dword v[0:1], v13, off
	global_store_dword v[0:1], v12, off offset:1024
	global_store_dword v[0:1], v11, off offset:2048
	;; [unrolled: 1-line block ×3, first 2 shown]
	s_waitcnt lgkmcnt(3)
	global_store_byte v[8:9], v5, off
	s_waitcnt lgkmcnt(2)
	global_store_byte v[8:9], v4, off offset:256
	s_waitcnt lgkmcnt(1)
	global_store_byte v[8:9], v3, off offset:512
	s_cbranch_execz .LBB0_38
	s_branch .LBB0_51
.LBB0_37:
	s_mov_b64 s[4:5], 0
.LBB0_38:
	v_cmp_gt_u32_e32 vcc, s29, v6
	s_and_saveexec_b64 s[0:1], vcc
	s_cbranch_execz .LBB0_40
; %bb.39:
	global_store_dword v[0:1], v13, off
.LBB0_40:
	s_or_b64 exec, exec, s[0:1]
	v_add_u32_e32 v8, 0x100, v6
	v_cmp_gt_u32_e64 s[0:1], s29, v8
	s_and_saveexec_b64 s[2:3], s[0:1]
	s_cbranch_execz .LBB0_42
; %bb.41:
	global_store_dword v[0:1], v12, off offset:1024
.LBB0_42:
	s_or_b64 exec, exec, s[2:3]
	v_add_u32_e32 v8, 0x200, v6
	v_cmp_gt_u32_e64 s[2:3], s29, v8
	s_and_saveexec_b64 s[4:5], s[2:3]
	s_cbranch_execz .LBB0_44
; %bb.43:
	global_store_dword v[0:1], v11, off offset:2048
.LBB0_44:
	;; [unrolled: 8-line block ×3, first 2 shown]
	s_or_b64 exec, exec, s[6:7]
	s_add_u32 s6, s42, s28
	s_addc_u32 s7, s43, 0
	v_lshl_add_u64 v[0:1], s[6:7], 0, v[6:7]
	s_and_saveexec_b64 s[6:7], vcc
	s_cbranch_execnz .LBB0_57
; %bb.47:
	s_or_b64 exec, exec, s[6:7]
	s_and_saveexec_b64 s[6:7], s[0:1]
	s_cbranch_execnz .LBB0_58
.LBB0_48:
	s_or_b64 exec, exec, s[6:7]
	s_and_saveexec_b64 s[0:1], s[2:3]
	s_cbranch_execz .LBB0_50
.LBB0_49:
	s_waitcnt lgkmcnt(1)
	global_store_byte v[0:1], v3, off offset:512
.LBB0_50:
	s_or_b64 exec, exec, s[0:1]
.LBB0_51:
	s_and_saveexec_b64 s[0:1], s[4:5]
	s_cbranch_execnz .LBB0_53
; %bb.52:
	s_endpgm
.LBB0_53:
	s_add_u32 s0, s42, s28
	s_addc_u32 s1, s43, 0
	v_lshl_add_u64 v[0:1], s[0:1], 0, v[6:7]
	s_waitcnt lgkmcnt(0)
	global_store_byte v[0:1], v2, off offset:768
	s_endpgm
.LBB0_54:
	global_load_ubyte v41, v[12:13], off
	s_or_b64 exec, exec, s[8:9]
                                        ; implicit-def: $vgpr42
	s_and_saveexec_b64 s[8:9], s[2:3]
	s_cbranch_execz .LBB0_13
.LBB0_55:
	global_load_ubyte v42, v[12:13], off offset:64
	s_or_b64 exec, exec, s[8:9]
                                        ; implicit-def: $vgpr43
	s_and_saveexec_b64 s[2:3], s[4:5]
	s_cbranch_execz .LBB0_14
.LBB0_56:
	global_load_ubyte v43, v[12:13], off offset:128
	s_or_b64 exec, exec, s[2:3]
                                        ; implicit-def: $vgpr44
	s_and_saveexec_b64 s[2:3], s[6:7]
	s_cbranch_execnz .LBB0_15
	s_branch .LBB0_16
.LBB0_57:
	s_waitcnt lgkmcnt(3)
	global_store_byte v[0:1], v5, off
	s_or_b64 exec, exec, s[6:7]
	s_and_saveexec_b64 s[6:7], s[0:1]
	s_cbranch_execz .LBB0_48
.LBB0_58:
	s_waitcnt lgkmcnt(2)
	global_store_byte v[0:1], v4, off offset:256
	s_or_b64 exec, exec, s[6:7]
	s_and_saveexec_b64 s[0:1], s[2:3]
	s_cbranch_execnz .LBB0_49
	s_branch .LBB0_50
	.section	.rodata,"a",@progbits
	.p2align	6, 0x0
	.amdhsa_kernel _ZN7rocprim17ROCPRIM_304000_NS6detail28radix_sort_block_sort_kernelINS1_36wrapped_radix_sort_block_sort_configINS0_13kernel_configILj256ELj4ELj4294967295EEEiN2at4cuda3cub6detail10OpaqueTypeILi1EEEEELb1EPKiPiPKSB_PSB_NS0_19identity_decomposerEEEvT1_T2_T3_T4_jT5_jj
		.amdhsa_group_segment_fixed_size 4112
		.amdhsa_private_segment_fixed_size 0
		.amdhsa_kernarg_size 304
		.amdhsa_user_sgpr_count 2
		.amdhsa_user_sgpr_dispatch_ptr 0
		.amdhsa_user_sgpr_queue_ptr 0
		.amdhsa_user_sgpr_kernarg_segment_ptr 1
		.amdhsa_user_sgpr_dispatch_id 0
		.amdhsa_user_sgpr_kernarg_preload_length 0
		.amdhsa_user_sgpr_kernarg_preload_offset 0
		.amdhsa_user_sgpr_private_segment_size 0
		.amdhsa_uses_dynamic_stack 0
		.amdhsa_enable_private_segment 0
		.amdhsa_system_sgpr_workgroup_id_x 1
		.amdhsa_system_sgpr_workgroup_id_y 0
		.amdhsa_system_sgpr_workgroup_id_z 0
		.amdhsa_system_sgpr_workgroup_info 0
		.amdhsa_system_vgpr_workitem_id 2
		.amdhsa_next_free_vgpr 47
		.amdhsa_next_free_sgpr 46
		.amdhsa_accum_offset 48
		.amdhsa_reserve_vcc 1
		.amdhsa_float_round_mode_32 0
		.amdhsa_float_round_mode_16_64 0
		.amdhsa_float_denorm_mode_32 3
		.amdhsa_float_denorm_mode_16_64 3
		.amdhsa_dx10_clamp 1
		.amdhsa_ieee_mode 1
		.amdhsa_fp16_overflow 0
		.amdhsa_tg_split 0
		.amdhsa_exception_fp_ieee_invalid_op 0
		.amdhsa_exception_fp_denorm_src 0
		.amdhsa_exception_fp_ieee_div_zero 0
		.amdhsa_exception_fp_ieee_overflow 0
		.amdhsa_exception_fp_ieee_underflow 0
		.amdhsa_exception_fp_ieee_inexact 0
		.amdhsa_exception_int_div_zero 0
	.end_amdhsa_kernel
	.section	.text._ZN7rocprim17ROCPRIM_304000_NS6detail28radix_sort_block_sort_kernelINS1_36wrapped_radix_sort_block_sort_configINS0_13kernel_configILj256ELj4ELj4294967295EEEiN2at4cuda3cub6detail10OpaqueTypeILi1EEEEELb1EPKiPiPKSB_PSB_NS0_19identity_decomposerEEEvT1_T2_T3_T4_jT5_jj,"axG",@progbits,_ZN7rocprim17ROCPRIM_304000_NS6detail28radix_sort_block_sort_kernelINS1_36wrapped_radix_sort_block_sort_configINS0_13kernel_configILj256ELj4ELj4294967295EEEiN2at4cuda3cub6detail10OpaqueTypeILi1EEEEELb1EPKiPiPKSB_PSB_NS0_19identity_decomposerEEEvT1_T2_T3_T4_jT5_jj,comdat
.Lfunc_end0:
	.size	_ZN7rocprim17ROCPRIM_304000_NS6detail28radix_sort_block_sort_kernelINS1_36wrapped_radix_sort_block_sort_configINS0_13kernel_configILj256ELj4ELj4294967295EEEiN2at4cuda3cub6detail10OpaqueTypeILi1EEEEELb1EPKiPiPKSB_PSB_NS0_19identity_decomposerEEEvT1_T2_T3_T4_jT5_jj, .Lfunc_end0-_ZN7rocprim17ROCPRIM_304000_NS6detail28radix_sort_block_sort_kernelINS1_36wrapped_radix_sort_block_sort_configINS0_13kernel_configILj256ELj4ELj4294967295EEEiN2at4cuda3cub6detail10OpaqueTypeILi1EEEEELb1EPKiPiPKSB_PSB_NS0_19identity_decomposerEEEvT1_T2_T3_T4_jT5_jj
                                        ; -- End function
	.set _ZN7rocprim17ROCPRIM_304000_NS6detail28radix_sort_block_sort_kernelINS1_36wrapped_radix_sort_block_sort_configINS0_13kernel_configILj256ELj4ELj4294967295EEEiN2at4cuda3cub6detail10OpaqueTypeILi1EEEEELb1EPKiPiPKSB_PSB_NS0_19identity_decomposerEEEvT1_T2_T3_T4_jT5_jj.num_vgpr, 47
	.set _ZN7rocprim17ROCPRIM_304000_NS6detail28radix_sort_block_sort_kernelINS1_36wrapped_radix_sort_block_sort_configINS0_13kernel_configILj256ELj4ELj4294967295EEEiN2at4cuda3cub6detail10OpaqueTypeILi1EEEEELb1EPKiPiPKSB_PSB_NS0_19identity_decomposerEEEvT1_T2_T3_T4_jT5_jj.num_agpr, 0
	.set _ZN7rocprim17ROCPRIM_304000_NS6detail28radix_sort_block_sort_kernelINS1_36wrapped_radix_sort_block_sort_configINS0_13kernel_configILj256ELj4ELj4294967295EEEiN2at4cuda3cub6detail10OpaqueTypeILi1EEEEELb1EPKiPiPKSB_PSB_NS0_19identity_decomposerEEEvT1_T2_T3_T4_jT5_jj.numbered_sgpr, 46
	.set _ZN7rocprim17ROCPRIM_304000_NS6detail28radix_sort_block_sort_kernelINS1_36wrapped_radix_sort_block_sort_configINS0_13kernel_configILj256ELj4ELj4294967295EEEiN2at4cuda3cub6detail10OpaqueTypeILi1EEEEELb1EPKiPiPKSB_PSB_NS0_19identity_decomposerEEEvT1_T2_T3_T4_jT5_jj.num_named_barrier, 0
	.set _ZN7rocprim17ROCPRIM_304000_NS6detail28radix_sort_block_sort_kernelINS1_36wrapped_radix_sort_block_sort_configINS0_13kernel_configILj256ELj4ELj4294967295EEEiN2at4cuda3cub6detail10OpaqueTypeILi1EEEEELb1EPKiPiPKSB_PSB_NS0_19identity_decomposerEEEvT1_T2_T3_T4_jT5_jj.private_seg_size, 0
	.set _ZN7rocprim17ROCPRIM_304000_NS6detail28radix_sort_block_sort_kernelINS1_36wrapped_radix_sort_block_sort_configINS0_13kernel_configILj256ELj4ELj4294967295EEEiN2at4cuda3cub6detail10OpaqueTypeILi1EEEEELb1EPKiPiPKSB_PSB_NS0_19identity_decomposerEEEvT1_T2_T3_T4_jT5_jj.uses_vcc, 1
	.set _ZN7rocprim17ROCPRIM_304000_NS6detail28radix_sort_block_sort_kernelINS1_36wrapped_radix_sort_block_sort_configINS0_13kernel_configILj256ELj4ELj4294967295EEEiN2at4cuda3cub6detail10OpaqueTypeILi1EEEEELb1EPKiPiPKSB_PSB_NS0_19identity_decomposerEEEvT1_T2_T3_T4_jT5_jj.uses_flat_scratch, 0
	.set _ZN7rocprim17ROCPRIM_304000_NS6detail28radix_sort_block_sort_kernelINS1_36wrapped_radix_sort_block_sort_configINS0_13kernel_configILj256ELj4ELj4294967295EEEiN2at4cuda3cub6detail10OpaqueTypeILi1EEEEELb1EPKiPiPKSB_PSB_NS0_19identity_decomposerEEEvT1_T2_T3_T4_jT5_jj.has_dyn_sized_stack, 0
	.set _ZN7rocprim17ROCPRIM_304000_NS6detail28radix_sort_block_sort_kernelINS1_36wrapped_radix_sort_block_sort_configINS0_13kernel_configILj256ELj4ELj4294967295EEEiN2at4cuda3cub6detail10OpaqueTypeILi1EEEEELb1EPKiPiPKSB_PSB_NS0_19identity_decomposerEEEvT1_T2_T3_T4_jT5_jj.has_recursion, 0
	.set _ZN7rocprim17ROCPRIM_304000_NS6detail28radix_sort_block_sort_kernelINS1_36wrapped_radix_sort_block_sort_configINS0_13kernel_configILj256ELj4ELj4294967295EEEiN2at4cuda3cub6detail10OpaqueTypeILi1EEEEELb1EPKiPiPKSB_PSB_NS0_19identity_decomposerEEEvT1_T2_T3_T4_jT5_jj.has_indirect_call, 0
	.section	.AMDGPU.csdata,"",@progbits
; Kernel info:
; codeLenInByte = 3796
; TotalNumSgprs: 52
; NumVgprs: 47
; NumAgprs: 0
; TotalNumVgprs: 47
; ScratchSize: 0
; MemoryBound: 0
; FloatMode: 240
; IeeeMode: 1
; LDSByteSize: 4112 bytes/workgroup (compile time only)
; SGPRBlocks: 6
; VGPRBlocks: 5
; NumSGPRsForWavesPerEU: 52
; NumVGPRsForWavesPerEU: 47
; AccumOffset: 48
; Occupancy: 8
; WaveLimiterHint : 1
; COMPUTE_PGM_RSRC2:SCRATCH_EN: 0
; COMPUTE_PGM_RSRC2:USER_SGPR: 2
; COMPUTE_PGM_RSRC2:TRAP_HANDLER: 0
; COMPUTE_PGM_RSRC2:TGID_X_EN: 1
; COMPUTE_PGM_RSRC2:TGID_Y_EN: 0
; COMPUTE_PGM_RSRC2:TGID_Z_EN: 0
; COMPUTE_PGM_RSRC2:TIDIG_COMP_CNT: 2
; COMPUTE_PGM_RSRC3_GFX90A:ACCUM_OFFSET: 11
; COMPUTE_PGM_RSRC3_GFX90A:TG_SPLIT: 0
	.section	.text._ZN7rocprim17ROCPRIM_304000_NS6detail39device_merge_sort_compile_time_verifierINS1_36wrapped_merge_sort_block_sort_configINS1_28merge_sort_block_sort_configILj256ELj4ELNS0_20block_sort_algorithmE0EEEiN2at4cuda3cub6detail10OpaqueTypeILi1EEEEENS1_37wrapped_merge_sort_block_merge_configINS0_14default_configEiSC_EEEEvv,"axG",@progbits,_ZN7rocprim17ROCPRIM_304000_NS6detail39device_merge_sort_compile_time_verifierINS1_36wrapped_merge_sort_block_sort_configINS1_28merge_sort_block_sort_configILj256ELj4ELNS0_20block_sort_algorithmE0EEEiN2at4cuda3cub6detail10OpaqueTypeILi1EEEEENS1_37wrapped_merge_sort_block_merge_configINS0_14default_configEiSC_EEEEvv,comdat
	.protected	_ZN7rocprim17ROCPRIM_304000_NS6detail39device_merge_sort_compile_time_verifierINS1_36wrapped_merge_sort_block_sort_configINS1_28merge_sort_block_sort_configILj256ELj4ELNS0_20block_sort_algorithmE0EEEiN2at4cuda3cub6detail10OpaqueTypeILi1EEEEENS1_37wrapped_merge_sort_block_merge_configINS0_14default_configEiSC_EEEEvv ; -- Begin function _ZN7rocprim17ROCPRIM_304000_NS6detail39device_merge_sort_compile_time_verifierINS1_36wrapped_merge_sort_block_sort_configINS1_28merge_sort_block_sort_configILj256ELj4ELNS0_20block_sort_algorithmE0EEEiN2at4cuda3cub6detail10OpaqueTypeILi1EEEEENS1_37wrapped_merge_sort_block_merge_configINS0_14default_configEiSC_EEEEvv
	.globl	_ZN7rocprim17ROCPRIM_304000_NS6detail39device_merge_sort_compile_time_verifierINS1_36wrapped_merge_sort_block_sort_configINS1_28merge_sort_block_sort_configILj256ELj4ELNS0_20block_sort_algorithmE0EEEiN2at4cuda3cub6detail10OpaqueTypeILi1EEEEENS1_37wrapped_merge_sort_block_merge_configINS0_14default_configEiSC_EEEEvv
	.p2align	8
	.type	_ZN7rocprim17ROCPRIM_304000_NS6detail39device_merge_sort_compile_time_verifierINS1_36wrapped_merge_sort_block_sort_configINS1_28merge_sort_block_sort_configILj256ELj4ELNS0_20block_sort_algorithmE0EEEiN2at4cuda3cub6detail10OpaqueTypeILi1EEEEENS1_37wrapped_merge_sort_block_merge_configINS0_14default_configEiSC_EEEEvv,@function
_ZN7rocprim17ROCPRIM_304000_NS6detail39device_merge_sort_compile_time_verifierINS1_36wrapped_merge_sort_block_sort_configINS1_28merge_sort_block_sort_configILj256ELj4ELNS0_20block_sort_algorithmE0EEEiN2at4cuda3cub6detail10OpaqueTypeILi1EEEEENS1_37wrapped_merge_sort_block_merge_configINS0_14default_configEiSC_EEEEvv: ; @_ZN7rocprim17ROCPRIM_304000_NS6detail39device_merge_sort_compile_time_verifierINS1_36wrapped_merge_sort_block_sort_configINS1_28merge_sort_block_sort_configILj256ELj4ELNS0_20block_sort_algorithmE0EEEiN2at4cuda3cub6detail10OpaqueTypeILi1EEEEENS1_37wrapped_merge_sort_block_merge_configINS0_14default_configEiSC_EEEEvv
; %bb.0:
	s_endpgm
	.section	.rodata,"a",@progbits
	.p2align	6, 0x0
	.amdhsa_kernel _ZN7rocprim17ROCPRIM_304000_NS6detail39device_merge_sort_compile_time_verifierINS1_36wrapped_merge_sort_block_sort_configINS1_28merge_sort_block_sort_configILj256ELj4ELNS0_20block_sort_algorithmE0EEEiN2at4cuda3cub6detail10OpaqueTypeILi1EEEEENS1_37wrapped_merge_sort_block_merge_configINS0_14default_configEiSC_EEEEvv
		.amdhsa_group_segment_fixed_size 0
		.amdhsa_private_segment_fixed_size 0
		.amdhsa_kernarg_size 0
		.amdhsa_user_sgpr_count 0
		.amdhsa_user_sgpr_dispatch_ptr 0
		.amdhsa_user_sgpr_queue_ptr 0
		.amdhsa_user_sgpr_kernarg_segment_ptr 0
		.amdhsa_user_sgpr_dispatch_id 0
		.amdhsa_user_sgpr_kernarg_preload_length 0
		.amdhsa_user_sgpr_kernarg_preload_offset 0
		.amdhsa_user_sgpr_private_segment_size 0
		.amdhsa_uses_dynamic_stack 0
		.amdhsa_enable_private_segment 0
		.amdhsa_system_sgpr_workgroup_id_x 1
		.amdhsa_system_sgpr_workgroup_id_y 0
		.amdhsa_system_sgpr_workgroup_id_z 0
		.amdhsa_system_sgpr_workgroup_info 0
		.amdhsa_system_vgpr_workitem_id 0
		.amdhsa_next_free_vgpr 1
		.amdhsa_next_free_sgpr 0
		.amdhsa_accum_offset 4
		.amdhsa_reserve_vcc 0
		.amdhsa_float_round_mode_32 0
		.amdhsa_float_round_mode_16_64 0
		.amdhsa_float_denorm_mode_32 3
		.amdhsa_float_denorm_mode_16_64 3
		.amdhsa_dx10_clamp 1
		.amdhsa_ieee_mode 1
		.amdhsa_fp16_overflow 0
		.amdhsa_tg_split 0
		.amdhsa_exception_fp_ieee_invalid_op 0
		.amdhsa_exception_fp_denorm_src 0
		.amdhsa_exception_fp_ieee_div_zero 0
		.amdhsa_exception_fp_ieee_overflow 0
		.amdhsa_exception_fp_ieee_underflow 0
		.amdhsa_exception_fp_ieee_inexact 0
		.amdhsa_exception_int_div_zero 0
	.end_amdhsa_kernel
	.section	.text._ZN7rocprim17ROCPRIM_304000_NS6detail39device_merge_sort_compile_time_verifierINS1_36wrapped_merge_sort_block_sort_configINS1_28merge_sort_block_sort_configILj256ELj4ELNS0_20block_sort_algorithmE0EEEiN2at4cuda3cub6detail10OpaqueTypeILi1EEEEENS1_37wrapped_merge_sort_block_merge_configINS0_14default_configEiSC_EEEEvv,"axG",@progbits,_ZN7rocprim17ROCPRIM_304000_NS6detail39device_merge_sort_compile_time_verifierINS1_36wrapped_merge_sort_block_sort_configINS1_28merge_sort_block_sort_configILj256ELj4ELNS0_20block_sort_algorithmE0EEEiN2at4cuda3cub6detail10OpaqueTypeILi1EEEEENS1_37wrapped_merge_sort_block_merge_configINS0_14default_configEiSC_EEEEvv,comdat
.Lfunc_end1:
	.size	_ZN7rocprim17ROCPRIM_304000_NS6detail39device_merge_sort_compile_time_verifierINS1_36wrapped_merge_sort_block_sort_configINS1_28merge_sort_block_sort_configILj256ELj4ELNS0_20block_sort_algorithmE0EEEiN2at4cuda3cub6detail10OpaqueTypeILi1EEEEENS1_37wrapped_merge_sort_block_merge_configINS0_14default_configEiSC_EEEEvv, .Lfunc_end1-_ZN7rocprim17ROCPRIM_304000_NS6detail39device_merge_sort_compile_time_verifierINS1_36wrapped_merge_sort_block_sort_configINS1_28merge_sort_block_sort_configILj256ELj4ELNS0_20block_sort_algorithmE0EEEiN2at4cuda3cub6detail10OpaqueTypeILi1EEEEENS1_37wrapped_merge_sort_block_merge_configINS0_14default_configEiSC_EEEEvv
                                        ; -- End function
	.set _ZN7rocprim17ROCPRIM_304000_NS6detail39device_merge_sort_compile_time_verifierINS1_36wrapped_merge_sort_block_sort_configINS1_28merge_sort_block_sort_configILj256ELj4ELNS0_20block_sort_algorithmE0EEEiN2at4cuda3cub6detail10OpaqueTypeILi1EEEEENS1_37wrapped_merge_sort_block_merge_configINS0_14default_configEiSC_EEEEvv.num_vgpr, 0
	.set _ZN7rocprim17ROCPRIM_304000_NS6detail39device_merge_sort_compile_time_verifierINS1_36wrapped_merge_sort_block_sort_configINS1_28merge_sort_block_sort_configILj256ELj4ELNS0_20block_sort_algorithmE0EEEiN2at4cuda3cub6detail10OpaqueTypeILi1EEEEENS1_37wrapped_merge_sort_block_merge_configINS0_14default_configEiSC_EEEEvv.num_agpr, 0
	.set _ZN7rocprim17ROCPRIM_304000_NS6detail39device_merge_sort_compile_time_verifierINS1_36wrapped_merge_sort_block_sort_configINS1_28merge_sort_block_sort_configILj256ELj4ELNS0_20block_sort_algorithmE0EEEiN2at4cuda3cub6detail10OpaqueTypeILi1EEEEENS1_37wrapped_merge_sort_block_merge_configINS0_14default_configEiSC_EEEEvv.numbered_sgpr, 0
	.set _ZN7rocprim17ROCPRIM_304000_NS6detail39device_merge_sort_compile_time_verifierINS1_36wrapped_merge_sort_block_sort_configINS1_28merge_sort_block_sort_configILj256ELj4ELNS0_20block_sort_algorithmE0EEEiN2at4cuda3cub6detail10OpaqueTypeILi1EEEEENS1_37wrapped_merge_sort_block_merge_configINS0_14default_configEiSC_EEEEvv.num_named_barrier, 0
	.set _ZN7rocprim17ROCPRIM_304000_NS6detail39device_merge_sort_compile_time_verifierINS1_36wrapped_merge_sort_block_sort_configINS1_28merge_sort_block_sort_configILj256ELj4ELNS0_20block_sort_algorithmE0EEEiN2at4cuda3cub6detail10OpaqueTypeILi1EEEEENS1_37wrapped_merge_sort_block_merge_configINS0_14default_configEiSC_EEEEvv.private_seg_size, 0
	.set _ZN7rocprim17ROCPRIM_304000_NS6detail39device_merge_sort_compile_time_verifierINS1_36wrapped_merge_sort_block_sort_configINS1_28merge_sort_block_sort_configILj256ELj4ELNS0_20block_sort_algorithmE0EEEiN2at4cuda3cub6detail10OpaqueTypeILi1EEEEENS1_37wrapped_merge_sort_block_merge_configINS0_14default_configEiSC_EEEEvv.uses_vcc, 0
	.set _ZN7rocprim17ROCPRIM_304000_NS6detail39device_merge_sort_compile_time_verifierINS1_36wrapped_merge_sort_block_sort_configINS1_28merge_sort_block_sort_configILj256ELj4ELNS0_20block_sort_algorithmE0EEEiN2at4cuda3cub6detail10OpaqueTypeILi1EEEEENS1_37wrapped_merge_sort_block_merge_configINS0_14default_configEiSC_EEEEvv.uses_flat_scratch, 0
	.set _ZN7rocprim17ROCPRIM_304000_NS6detail39device_merge_sort_compile_time_verifierINS1_36wrapped_merge_sort_block_sort_configINS1_28merge_sort_block_sort_configILj256ELj4ELNS0_20block_sort_algorithmE0EEEiN2at4cuda3cub6detail10OpaqueTypeILi1EEEEENS1_37wrapped_merge_sort_block_merge_configINS0_14default_configEiSC_EEEEvv.has_dyn_sized_stack, 0
	.set _ZN7rocprim17ROCPRIM_304000_NS6detail39device_merge_sort_compile_time_verifierINS1_36wrapped_merge_sort_block_sort_configINS1_28merge_sort_block_sort_configILj256ELj4ELNS0_20block_sort_algorithmE0EEEiN2at4cuda3cub6detail10OpaqueTypeILi1EEEEENS1_37wrapped_merge_sort_block_merge_configINS0_14default_configEiSC_EEEEvv.has_recursion, 0
	.set _ZN7rocprim17ROCPRIM_304000_NS6detail39device_merge_sort_compile_time_verifierINS1_36wrapped_merge_sort_block_sort_configINS1_28merge_sort_block_sort_configILj256ELj4ELNS0_20block_sort_algorithmE0EEEiN2at4cuda3cub6detail10OpaqueTypeILi1EEEEENS1_37wrapped_merge_sort_block_merge_configINS0_14default_configEiSC_EEEEvv.has_indirect_call, 0
	.section	.AMDGPU.csdata,"",@progbits
; Kernel info:
; codeLenInByte = 4
; TotalNumSgprs: 6
; NumVgprs: 0
; NumAgprs: 0
; TotalNumVgprs: 0
; ScratchSize: 0
; MemoryBound: 0
; FloatMode: 240
; IeeeMode: 1
; LDSByteSize: 0 bytes/workgroup (compile time only)
; SGPRBlocks: 0
; VGPRBlocks: 0
; NumSGPRsForWavesPerEU: 6
; NumVGPRsForWavesPerEU: 1
; AccumOffset: 4
; Occupancy: 8
; WaveLimiterHint : 0
; COMPUTE_PGM_RSRC2:SCRATCH_EN: 0
; COMPUTE_PGM_RSRC2:USER_SGPR: 0
; COMPUTE_PGM_RSRC2:TRAP_HANDLER: 0
; COMPUTE_PGM_RSRC2:TGID_X_EN: 1
; COMPUTE_PGM_RSRC2:TGID_Y_EN: 0
; COMPUTE_PGM_RSRC2:TGID_Z_EN: 0
; COMPUTE_PGM_RSRC2:TIDIG_COMP_CNT: 0
; COMPUTE_PGM_RSRC3_GFX90A:ACCUM_OFFSET: 0
; COMPUTE_PGM_RSRC3_GFX90A:TG_SPLIT: 0
	.section	.text._ZN7rocprim17ROCPRIM_304000_NS6detail45device_block_merge_mergepath_partition_kernelINS1_37wrapped_merge_sort_block_merge_configINS0_14default_configEiN2at4cuda3cub6detail10OpaqueTypeILi1EEEEEPijNS1_19radix_merge_compareILb1ELb0EiNS0_19identity_decomposerEEEEEvT0_T1_jPSH_T2_SH_,"axG",@progbits,_ZN7rocprim17ROCPRIM_304000_NS6detail45device_block_merge_mergepath_partition_kernelINS1_37wrapped_merge_sort_block_merge_configINS0_14default_configEiN2at4cuda3cub6detail10OpaqueTypeILi1EEEEEPijNS1_19radix_merge_compareILb1ELb0EiNS0_19identity_decomposerEEEEEvT0_T1_jPSH_T2_SH_,comdat
	.protected	_ZN7rocprim17ROCPRIM_304000_NS6detail45device_block_merge_mergepath_partition_kernelINS1_37wrapped_merge_sort_block_merge_configINS0_14default_configEiN2at4cuda3cub6detail10OpaqueTypeILi1EEEEEPijNS1_19radix_merge_compareILb1ELb0EiNS0_19identity_decomposerEEEEEvT0_T1_jPSH_T2_SH_ ; -- Begin function _ZN7rocprim17ROCPRIM_304000_NS6detail45device_block_merge_mergepath_partition_kernelINS1_37wrapped_merge_sort_block_merge_configINS0_14default_configEiN2at4cuda3cub6detail10OpaqueTypeILi1EEEEEPijNS1_19radix_merge_compareILb1ELb0EiNS0_19identity_decomposerEEEEEvT0_T1_jPSH_T2_SH_
	.globl	_ZN7rocprim17ROCPRIM_304000_NS6detail45device_block_merge_mergepath_partition_kernelINS1_37wrapped_merge_sort_block_merge_configINS0_14default_configEiN2at4cuda3cub6detail10OpaqueTypeILi1EEEEEPijNS1_19radix_merge_compareILb1ELb0EiNS0_19identity_decomposerEEEEEvT0_T1_jPSH_T2_SH_
	.p2align	8
	.type	_ZN7rocprim17ROCPRIM_304000_NS6detail45device_block_merge_mergepath_partition_kernelINS1_37wrapped_merge_sort_block_merge_configINS0_14default_configEiN2at4cuda3cub6detail10OpaqueTypeILi1EEEEEPijNS1_19radix_merge_compareILb1ELb0EiNS0_19identity_decomposerEEEEEvT0_T1_jPSH_T2_SH_,@function
_ZN7rocprim17ROCPRIM_304000_NS6detail45device_block_merge_mergepath_partition_kernelINS1_37wrapped_merge_sort_block_merge_configINS0_14default_configEiN2at4cuda3cub6detail10OpaqueTypeILi1EEEEEPijNS1_19radix_merge_compareILb1ELb0EiNS0_19identity_decomposerEEEEEvT0_T1_jPSH_T2_SH_: ; @_ZN7rocprim17ROCPRIM_304000_NS6detail45device_block_merge_mergepath_partition_kernelINS1_37wrapped_merge_sort_block_merge_configINS0_14default_configEiN2at4cuda3cub6detail10OpaqueTypeILi1EEEEEPijNS1_19radix_merge_compareILb1ELb0EiNS0_19identity_decomposerEEEEEvT0_T1_jPSH_T2_SH_
; %bb.0:
	s_load_dwordx2 s[4:5], s[0:1], 0x8
	v_lshl_or_b32 v0, s2, 7, v0
	s_waitcnt lgkmcnt(0)
	v_cmp_gt_u32_e32 vcc, s5, v0
	s_and_saveexec_b64 s[2:3], vcc
	s_cbranch_execz .LBB2_6
; %bb.1:
	s_load_dword s2, s[0:1], 0x1c
	s_waitcnt lgkmcnt(0)
	s_lshr_b32 s3, s2, 9
	s_and_b32 s3, s3, 0x7ffffe
	s_add_i32 s5, s3, -1
	s_sub_i32 s3, 0, s3
	v_and_b32_e32 v1, s3, v0
	v_and_b32_e32 v2, s5, v0
	v_lshlrev_b32_e32 v1, 10, v1
	v_lshlrev_b32_e32 v3, 10, v2
	v_min_u32_e32 v2, s4, v1
	v_add_u32_e32 v1, s2, v1
	v_min_u32_e32 v4, s4, v1
	v_add_u32_e32 v1, s2, v4
	v_min_u32_e32 v1, s4, v1
	v_sub_u32_e32 v5, v1, v2
	v_min_u32_e32 v10, v5, v3
	v_sub_u32_e32 v3, v4, v2
	v_sub_u32_e32 v1, v1, v4
	v_sub_u32_e64 v1, v10, v1 clamp
	v_min_u32_e32 v11, v10, v3
	v_cmp_lt_u32_e32 vcc, v1, v11
	s_and_saveexec_b64 s[2:3], vcc
	s_cbranch_execz .LBB2_5
; %bb.2:
	s_load_dwordx2 s[4:5], s[0:1], 0x0
	v_mov_b32_e32 v5, 0
	v_mov_b32_e32 v3, v5
	s_waitcnt lgkmcnt(0)
	v_lshl_add_u64 v[6:7], v[2:3], 2, s[4:5]
	v_lshl_add_u64 v[8:9], v[4:5], 2, s[4:5]
	s_mov_b64 s[4:5], 0
.LBB2_3:                                ; =>This Inner Loop Header: Depth=1
	v_add_u32_e32 v3, v11, v1
	v_lshrrev_b32_e32 v4, 1, v3
	v_mov_b32_e32 v13, v5
	v_xad_u32 v12, v4, -1, v10
	v_lshl_add_u64 v[14:15], v[4:5], 2, v[6:7]
	v_lshl_add_u64 v[12:13], v[12:13], 2, v[8:9]
	global_load_dword v3, v[14:15], off
	global_load_dword v16, v[12:13], off
	v_add_u32_e32 v12, 1, v4
	s_waitcnt vmcnt(0)
	v_cmp_gt_i32_e32 vcc, v16, v3
	s_nop 1
	v_cndmask_b32_e32 v11, v11, v4, vcc
	v_cndmask_b32_e32 v1, v12, v1, vcc
	v_cmp_ge_u32_e32 vcc, v1, v11
	s_or_b64 s[4:5], vcc, s[4:5]
	s_andn2_b64 exec, exec, s[4:5]
	s_cbranch_execnz .LBB2_3
; %bb.4:
	s_or_b64 exec, exec, s[4:5]
.LBB2_5:
	s_or_b64 exec, exec, s[2:3]
	s_load_dwordx2 s[0:1], s[0:1], 0x10
	v_add_u32_e32 v2, v1, v2
	v_mov_b32_e32 v1, 0
	s_waitcnt lgkmcnt(0)
	v_lshl_add_u64 v[0:1], v[0:1], 2, s[0:1]
	global_store_dword v[0:1], v2, off
.LBB2_6:
	s_endpgm
	.section	.rodata,"a",@progbits
	.p2align	6, 0x0
	.amdhsa_kernel _ZN7rocprim17ROCPRIM_304000_NS6detail45device_block_merge_mergepath_partition_kernelINS1_37wrapped_merge_sort_block_merge_configINS0_14default_configEiN2at4cuda3cub6detail10OpaqueTypeILi1EEEEEPijNS1_19radix_merge_compareILb1ELb0EiNS0_19identity_decomposerEEEEEvT0_T1_jPSH_T2_SH_
		.amdhsa_group_segment_fixed_size 0
		.amdhsa_private_segment_fixed_size 0
		.amdhsa_kernarg_size 32
		.amdhsa_user_sgpr_count 2
		.amdhsa_user_sgpr_dispatch_ptr 0
		.amdhsa_user_sgpr_queue_ptr 0
		.amdhsa_user_sgpr_kernarg_segment_ptr 1
		.amdhsa_user_sgpr_dispatch_id 0
		.amdhsa_user_sgpr_kernarg_preload_length 0
		.amdhsa_user_sgpr_kernarg_preload_offset 0
		.amdhsa_user_sgpr_private_segment_size 0
		.amdhsa_uses_dynamic_stack 0
		.amdhsa_enable_private_segment 0
		.amdhsa_system_sgpr_workgroup_id_x 1
		.amdhsa_system_sgpr_workgroup_id_y 0
		.amdhsa_system_sgpr_workgroup_id_z 0
		.amdhsa_system_sgpr_workgroup_info 0
		.amdhsa_system_vgpr_workitem_id 0
		.amdhsa_next_free_vgpr 17
		.amdhsa_next_free_sgpr 6
		.amdhsa_accum_offset 20
		.amdhsa_reserve_vcc 1
		.amdhsa_float_round_mode_32 0
		.amdhsa_float_round_mode_16_64 0
		.amdhsa_float_denorm_mode_32 3
		.amdhsa_float_denorm_mode_16_64 3
		.amdhsa_dx10_clamp 1
		.amdhsa_ieee_mode 1
		.amdhsa_fp16_overflow 0
		.amdhsa_tg_split 0
		.amdhsa_exception_fp_ieee_invalid_op 0
		.amdhsa_exception_fp_denorm_src 0
		.amdhsa_exception_fp_ieee_div_zero 0
		.amdhsa_exception_fp_ieee_overflow 0
		.amdhsa_exception_fp_ieee_underflow 0
		.amdhsa_exception_fp_ieee_inexact 0
		.amdhsa_exception_int_div_zero 0
	.end_amdhsa_kernel
	.section	.text._ZN7rocprim17ROCPRIM_304000_NS6detail45device_block_merge_mergepath_partition_kernelINS1_37wrapped_merge_sort_block_merge_configINS0_14default_configEiN2at4cuda3cub6detail10OpaqueTypeILi1EEEEEPijNS1_19radix_merge_compareILb1ELb0EiNS0_19identity_decomposerEEEEEvT0_T1_jPSH_T2_SH_,"axG",@progbits,_ZN7rocprim17ROCPRIM_304000_NS6detail45device_block_merge_mergepath_partition_kernelINS1_37wrapped_merge_sort_block_merge_configINS0_14default_configEiN2at4cuda3cub6detail10OpaqueTypeILi1EEEEEPijNS1_19radix_merge_compareILb1ELb0EiNS0_19identity_decomposerEEEEEvT0_T1_jPSH_T2_SH_,comdat
.Lfunc_end2:
	.size	_ZN7rocprim17ROCPRIM_304000_NS6detail45device_block_merge_mergepath_partition_kernelINS1_37wrapped_merge_sort_block_merge_configINS0_14default_configEiN2at4cuda3cub6detail10OpaqueTypeILi1EEEEEPijNS1_19radix_merge_compareILb1ELb0EiNS0_19identity_decomposerEEEEEvT0_T1_jPSH_T2_SH_, .Lfunc_end2-_ZN7rocprim17ROCPRIM_304000_NS6detail45device_block_merge_mergepath_partition_kernelINS1_37wrapped_merge_sort_block_merge_configINS0_14default_configEiN2at4cuda3cub6detail10OpaqueTypeILi1EEEEEPijNS1_19radix_merge_compareILb1ELb0EiNS0_19identity_decomposerEEEEEvT0_T1_jPSH_T2_SH_
                                        ; -- End function
	.set _ZN7rocprim17ROCPRIM_304000_NS6detail45device_block_merge_mergepath_partition_kernelINS1_37wrapped_merge_sort_block_merge_configINS0_14default_configEiN2at4cuda3cub6detail10OpaqueTypeILi1EEEEEPijNS1_19radix_merge_compareILb1ELb0EiNS0_19identity_decomposerEEEEEvT0_T1_jPSH_T2_SH_.num_vgpr, 17
	.set _ZN7rocprim17ROCPRIM_304000_NS6detail45device_block_merge_mergepath_partition_kernelINS1_37wrapped_merge_sort_block_merge_configINS0_14default_configEiN2at4cuda3cub6detail10OpaqueTypeILi1EEEEEPijNS1_19radix_merge_compareILb1ELb0EiNS0_19identity_decomposerEEEEEvT0_T1_jPSH_T2_SH_.num_agpr, 0
	.set _ZN7rocprim17ROCPRIM_304000_NS6detail45device_block_merge_mergepath_partition_kernelINS1_37wrapped_merge_sort_block_merge_configINS0_14default_configEiN2at4cuda3cub6detail10OpaqueTypeILi1EEEEEPijNS1_19radix_merge_compareILb1ELb0EiNS0_19identity_decomposerEEEEEvT0_T1_jPSH_T2_SH_.numbered_sgpr, 6
	.set _ZN7rocprim17ROCPRIM_304000_NS6detail45device_block_merge_mergepath_partition_kernelINS1_37wrapped_merge_sort_block_merge_configINS0_14default_configEiN2at4cuda3cub6detail10OpaqueTypeILi1EEEEEPijNS1_19radix_merge_compareILb1ELb0EiNS0_19identity_decomposerEEEEEvT0_T1_jPSH_T2_SH_.num_named_barrier, 0
	.set _ZN7rocprim17ROCPRIM_304000_NS6detail45device_block_merge_mergepath_partition_kernelINS1_37wrapped_merge_sort_block_merge_configINS0_14default_configEiN2at4cuda3cub6detail10OpaqueTypeILi1EEEEEPijNS1_19radix_merge_compareILb1ELb0EiNS0_19identity_decomposerEEEEEvT0_T1_jPSH_T2_SH_.private_seg_size, 0
	.set _ZN7rocprim17ROCPRIM_304000_NS6detail45device_block_merge_mergepath_partition_kernelINS1_37wrapped_merge_sort_block_merge_configINS0_14default_configEiN2at4cuda3cub6detail10OpaqueTypeILi1EEEEEPijNS1_19radix_merge_compareILb1ELb0EiNS0_19identity_decomposerEEEEEvT0_T1_jPSH_T2_SH_.uses_vcc, 1
	.set _ZN7rocprim17ROCPRIM_304000_NS6detail45device_block_merge_mergepath_partition_kernelINS1_37wrapped_merge_sort_block_merge_configINS0_14default_configEiN2at4cuda3cub6detail10OpaqueTypeILi1EEEEEPijNS1_19radix_merge_compareILb1ELb0EiNS0_19identity_decomposerEEEEEvT0_T1_jPSH_T2_SH_.uses_flat_scratch, 0
	.set _ZN7rocprim17ROCPRIM_304000_NS6detail45device_block_merge_mergepath_partition_kernelINS1_37wrapped_merge_sort_block_merge_configINS0_14default_configEiN2at4cuda3cub6detail10OpaqueTypeILi1EEEEEPijNS1_19radix_merge_compareILb1ELb0EiNS0_19identity_decomposerEEEEEvT0_T1_jPSH_T2_SH_.has_dyn_sized_stack, 0
	.set _ZN7rocprim17ROCPRIM_304000_NS6detail45device_block_merge_mergepath_partition_kernelINS1_37wrapped_merge_sort_block_merge_configINS0_14default_configEiN2at4cuda3cub6detail10OpaqueTypeILi1EEEEEPijNS1_19radix_merge_compareILb1ELb0EiNS0_19identity_decomposerEEEEEvT0_T1_jPSH_T2_SH_.has_recursion, 0
	.set _ZN7rocprim17ROCPRIM_304000_NS6detail45device_block_merge_mergepath_partition_kernelINS1_37wrapped_merge_sort_block_merge_configINS0_14default_configEiN2at4cuda3cub6detail10OpaqueTypeILi1EEEEEPijNS1_19radix_merge_compareILb1ELb0EiNS0_19identity_decomposerEEEEEvT0_T1_jPSH_T2_SH_.has_indirect_call, 0
	.section	.AMDGPU.csdata,"",@progbits
; Kernel info:
; codeLenInByte = 320
; TotalNumSgprs: 12
; NumVgprs: 17
; NumAgprs: 0
; TotalNumVgprs: 17
; ScratchSize: 0
; MemoryBound: 0
; FloatMode: 240
; IeeeMode: 1
; LDSByteSize: 0 bytes/workgroup (compile time only)
; SGPRBlocks: 1
; VGPRBlocks: 2
; NumSGPRsForWavesPerEU: 12
; NumVGPRsForWavesPerEU: 17
; AccumOffset: 20
; Occupancy: 8
; WaveLimiterHint : 0
; COMPUTE_PGM_RSRC2:SCRATCH_EN: 0
; COMPUTE_PGM_RSRC2:USER_SGPR: 2
; COMPUTE_PGM_RSRC2:TRAP_HANDLER: 0
; COMPUTE_PGM_RSRC2:TGID_X_EN: 1
; COMPUTE_PGM_RSRC2:TGID_Y_EN: 0
; COMPUTE_PGM_RSRC2:TGID_Z_EN: 0
; COMPUTE_PGM_RSRC2:TIDIG_COMP_CNT: 0
; COMPUTE_PGM_RSRC3_GFX90A:ACCUM_OFFSET: 4
; COMPUTE_PGM_RSRC3_GFX90A:TG_SPLIT: 0
	.section	.text._ZN7rocprim17ROCPRIM_304000_NS6detail35device_block_merge_mergepath_kernelINS1_37wrapped_merge_sort_block_merge_configINS0_14default_configEiN2at4cuda3cub6detail10OpaqueTypeILi1EEEEEPiSC_PSA_SD_jNS1_19radix_merge_compareILb1ELb0EiNS0_19identity_decomposerEEEEEvT0_T1_T2_T3_T4_SL_jT5_PKSL_NS1_7vsmem_tE,"axG",@progbits,_ZN7rocprim17ROCPRIM_304000_NS6detail35device_block_merge_mergepath_kernelINS1_37wrapped_merge_sort_block_merge_configINS0_14default_configEiN2at4cuda3cub6detail10OpaqueTypeILi1EEEEEPiSC_PSA_SD_jNS1_19radix_merge_compareILb1ELb0EiNS0_19identity_decomposerEEEEEvT0_T1_T2_T3_T4_SL_jT5_PKSL_NS1_7vsmem_tE,comdat
	.protected	_ZN7rocprim17ROCPRIM_304000_NS6detail35device_block_merge_mergepath_kernelINS1_37wrapped_merge_sort_block_merge_configINS0_14default_configEiN2at4cuda3cub6detail10OpaqueTypeILi1EEEEEPiSC_PSA_SD_jNS1_19radix_merge_compareILb1ELb0EiNS0_19identity_decomposerEEEEEvT0_T1_T2_T3_T4_SL_jT5_PKSL_NS1_7vsmem_tE ; -- Begin function _ZN7rocprim17ROCPRIM_304000_NS6detail35device_block_merge_mergepath_kernelINS1_37wrapped_merge_sort_block_merge_configINS0_14default_configEiN2at4cuda3cub6detail10OpaqueTypeILi1EEEEEPiSC_PSA_SD_jNS1_19radix_merge_compareILb1ELb0EiNS0_19identity_decomposerEEEEEvT0_T1_T2_T3_T4_SL_jT5_PKSL_NS1_7vsmem_tE
	.globl	_ZN7rocprim17ROCPRIM_304000_NS6detail35device_block_merge_mergepath_kernelINS1_37wrapped_merge_sort_block_merge_configINS0_14default_configEiN2at4cuda3cub6detail10OpaqueTypeILi1EEEEEPiSC_PSA_SD_jNS1_19radix_merge_compareILb1ELb0EiNS0_19identity_decomposerEEEEEvT0_T1_T2_T3_T4_SL_jT5_PKSL_NS1_7vsmem_tE
	.p2align	8
	.type	_ZN7rocprim17ROCPRIM_304000_NS6detail35device_block_merge_mergepath_kernelINS1_37wrapped_merge_sort_block_merge_configINS0_14default_configEiN2at4cuda3cub6detail10OpaqueTypeILi1EEEEEPiSC_PSA_SD_jNS1_19radix_merge_compareILb1ELb0EiNS0_19identity_decomposerEEEEEvT0_T1_T2_T3_T4_SL_jT5_PKSL_NS1_7vsmem_tE,@function
_ZN7rocprim17ROCPRIM_304000_NS6detail35device_block_merge_mergepath_kernelINS1_37wrapped_merge_sort_block_merge_configINS0_14default_configEiN2at4cuda3cub6detail10OpaqueTypeILi1EEEEEPiSC_PSA_SD_jNS1_19radix_merge_compareILb1ELb0EiNS0_19identity_decomposerEEEEEvT0_T1_T2_T3_T4_SL_jT5_PKSL_NS1_7vsmem_tE: ; @_ZN7rocprim17ROCPRIM_304000_NS6detail35device_block_merge_mergepath_kernelINS1_37wrapped_merge_sort_block_merge_configINS0_14default_configEiN2at4cuda3cub6detail10OpaqueTypeILi1EEEEEPiSC_PSA_SD_jNS1_19radix_merge_compareILb1ELb0EiNS0_19identity_decomposerEEEEEvT0_T1_T2_T3_T4_SL_jT5_PKSL_NS1_7vsmem_tE
; %bb.0:
	s_load_dwordx2 s[10:11], s[0:1], 0x40
	s_load_dwordx4 s[20:23], s[0:1], 0x20
	s_add_u32 s8, s0, 64
	s_addc_u32 s9, s1, 0
	s_waitcnt lgkmcnt(0)
	s_mul_i32 s4, s11, s4
	s_add_i32 s3, s4, s3
	s_mul_i32 s3, s3, s10
	s_add_i32 s6, s3, s2
	s_cmp_ge_u32 s6, s22
	s_cbranch_scc1 .LBB3_105
; %bb.1:
	s_load_dwordx8 s[12:19], s[0:1], 0x0
	s_load_dwordx2 s[4:5], s[0:1], 0x30
	s_lshr_b32 s11, s20, 10
	s_cmp_lg_u32 s6, s11
	s_mov_b32 s7, 0
	s_cselect_b64 s[24:25], -1, 0
	s_lshl_b64 s[0:1], s[6:7], 2
	s_waitcnt lgkmcnt(0)
	s_add_u32 s0, s4, s0
	s_addc_u32 s1, s5, s1
	s_load_dwordx2 s[26:27], s[0:1], 0x0
	s_lshr_b32 s0, s21, 9
	s_and_b32 s0, s0, 0x7ffffe
	s_sub_i32 s0, 0, s0
	s_and_b32 s1, s6, s0
	s_lshl_b32 s3, s1, 10
	s_lshl_b32 s22, s6, 10
	s_lshl_b32 s1, s1, 11
	s_sub_i32 s4, s22, s3
	s_add_i32 s1, s1, s21
	s_add_i32 s4, s1, s4
	s_waitcnt lgkmcnt(0)
	s_sub_i32 s5, s4, s26
	s_sub_i32 s4, s4, s27
	;; [unrolled: 1-line block ×3, first 2 shown]
	s_min_u32 s28, s20, s5
	s_addk_i32 s4, 0x400
	s_or_b32 s0, s6, s0
	s_min_u32 s3, s20, s1
	s_add_i32 s1, s1, s21
	s_cmp_eq_u32 s0, -1
	s_cselect_b32 s0, s1, s4
	s_cselect_b32 s1, s3, s27
	s_min_u32 s0, s0, s20
	s_mov_b32 s27, s7
	s_sub_i32 s23, s1, s26
	s_sub_i32 s33, s0, s28
	s_lshl_b64 s[0:1], s[26:27], 2
	s_add_u32 s0, s12, s0
	s_mov_b32 s29, s7
	s_addc_u32 s1, s13, s1
	s_lshl_b64 s[4:5], s[28:29], 2
	s_add_u32 s4, s12, s4
	s_addc_u32 s5, s13, s5
	s_cmp_lt_u32 s2, s10
	v_mov_b32_e32 v11, 0
	s_cselect_b32 s2, 12, 18
	global_load_dword v1, v11, s[8:9] offset:14
	s_add_u32 s2, s8, s2
	s_addc_u32 s3, s9, 0
	global_load_ushort v2, v11, s[2:3]
	v_cmp_gt_u32_e32 vcc, s23, v0
	s_cmp_eq_u32 s6, s11
	v_lshlrev_b32_e32 v10, 2, v0
	s_waitcnt vmcnt(1)
	v_lshrrev_b32_e32 v3, 16, v1
	v_and_b32_e32 v1, 0xffff, v1
	v_mul_lo_u32 v1, v1, v3
	s_waitcnt vmcnt(0)
	v_mul_lo_u32 v1, v1, v2
	v_add_u32_e32 v12, v1, v0
	s_cbranch_scc1 .LBB3_3
; %bb.2:
	v_subrev_u32_e32 v4, s23, v0
	v_lshlrev_b32_e32 v4, 2, v4
	v_mov_b32_e32 v5, v11
	v_lshl_add_u64 v[2:3], s[0:1], 0, v[10:11]
	v_lshl_add_u64 v[4:5], s[4:5], 0, v[4:5]
	v_cndmask_b32_e32 v3, v5, v3, vcc
	v_cndmask_b32_e32 v2, v4, v2, vcc
	v_mov_b32_e32 v13, v11
	v_subrev_co_u32_e32 v6, vcc, s23, v12
	v_mov_b32_e32 v7, v11
	v_lshl_add_u64 v[4:5], v[12:13], 2, s[0:1]
	v_lshl_add_u64 v[6:7], v[6:7], 2, s[4:5]
	v_cndmask_b32_e32 v4, v6, v4, vcc
	v_add_u32_e32 v6, v12, v1
	v_cndmask_b32_e32 v5, v7, v5, vcc
	v_mov_b32_e32 v7, v11
	v_subrev_co_u32_e32 v8, vcc, s23, v6
	v_mov_b32_e32 v9, v11
	global_load_dword v2, v[2:3], off
	v_lshl_add_u64 v[8:9], v[8:9], 2, s[4:5]
	global_load_dword v3, v[4:5], off
	v_lshl_add_u64 v[4:5], v[6:7], 2, s[0:1]
	v_add_u32_e32 v6, v6, v1
	v_cndmask_b32_e32 v5, v9, v5, vcc
	v_cndmask_b32_e32 v4, v8, v4, vcc
	v_subrev_co_u32_e32 v14, vcc, s23, v6
	v_mov_b32_e32 v15, v11
	v_lshl_add_u64 v[8:9], v[6:7], 2, s[0:1]
	v_lshl_add_u64 v[14:15], v[14:15], 2, s[4:5]
	v_cndmask_b32_e32 v9, v15, v9, vcc
	v_cndmask_b32_e32 v8, v14, v8, vcc
	global_load_dword v4, v[4:5], off
	v_mov_b32_e32 v15, v11
	global_load_dword v5, v[8:9], off
	v_add_u32_e32 v8, v6, v1
	v_mov_b32_e32 v9, v11
	v_subrev_co_u32_e32 v14, vcc, s23, v8
	v_lshl_add_u64 v[6:7], v[8:9], 2, s[0:1]
	v_lshl_add_u64 v[14:15], v[14:15], 2, s[4:5]
	v_add_u32_e32 v8, v8, v1
	v_cndmask_b32_e32 v7, v15, v7, vcc
	v_cndmask_b32_e32 v6, v14, v6, vcc
	v_subrev_co_u32_e32 v16, vcc, s23, v8
	v_mov_b32_e32 v17, v11
	v_lshl_add_u64 v[14:15], v[8:9], 2, s[0:1]
	v_lshl_add_u64 v[16:17], v[16:17], 2, s[4:5]
	v_cndmask_b32_e32 v15, v17, v15, vcc
	v_cndmask_b32_e32 v14, v16, v14, vcc
	global_load_dword v6, v[6:7], off
	v_mov_b32_e32 v17, v11
	global_load_dword v7, v[14:15], off
	v_add_u32_e32 v14, v8, v1
	v_mov_b32_e32 v15, v11
	v_subrev_co_u32_e32 v16, vcc, s23, v14
	v_lshl_add_u64 v[8:9], v[14:15], 2, s[0:1]
	v_lshl_add_u64 v[16:17], v[16:17], 2, s[4:5]
	v_add_u32_e32 v14, v14, v1
	v_cndmask_b32_e32 v9, v17, v9, vcc
	v_cndmask_b32_e32 v8, v16, v8, vcc
	v_lshl_add_u64 v[16:17], v[14:15], 2, s[0:1]
	v_subrev_co_u32_e32 v14, vcc, s23, v14
	v_lshl_add_u64 v[14:15], v[14:15], 2, s[4:5]
	s_nop 0
	v_cndmask_b32_e32 v15, v15, v17, vcc
	v_cndmask_b32_e32 v14, v14, v16, vcc
	global_load_dword v8, v[8:9], off
	s_add_i32 s21, s33, s23
	global_load_dword v9, v[14:15], off
	s_cbranch_execz .LBB3_4
	s_branch .LBB3_21
.LBB3_3:
                                        ; implicit-def: $vgpr2_vgpr3_vgpr4_vgpr5_vgpr6_vgpr7_vgpr8_vgpr9
                                        ; implicit-def: $sgpr21
.LBB3_4:
	s_add_i32 s21, s33, s23
	s_waitcnt vmcnt(7)
	v_mov_b32_e32 v2, 0
	v_cmp_gt_u32_e32 vcc, s21, v0
	s_waitcnt vmcnt(6)
	v_mov_b32_e32 v3, v2
	s_waitcnt vmcnt(5)
	v_mov_b32_e32 v4, v2
	;; [unrolled: 2-line block ×7, first 2 shown]
	s_and_saveexec_b64 s[2:3], vcc
	s_cbranch_execz .LBB3_6
; %bb.5:
	v_subrev_u32_e32 v3, s23, v0
	v_mov_b32_e32 v11, v2
	v_lshlrev_b32_e32 v6, 2, v3
	v_mov_b32_e32 v7, v2
	v_lshl_add_u64 v[4:5], s[0:1], 0, v[10:11]
	v_lshl_add_u64 v[6:7], s[4:5], 0, v[6:7]
	v_cmp_gt_u32_e32 vcc, s23, v0
	v_mov_b32_e32 v15, v2
	v_mov_b32_e32 v16, v2
	v_cndmask_b32_e32 v5, v7, v5, vcc
	v_cndmask_b32_e32 v4, v6, v4, vcc
	global_load_dword v14, v[4:5], off
	v_mov_b32_e32 v17, v2
	v_mov_b32_e32 v18, v2
	;; [unrolled: 1-line block ×5, first 2 shown]
	s_waitcnt vmcnt(0)
	v_mov_b64_e32 v[2:3], v[14:15]
	v_mov_b64_e32 v[4:5], v[16:17]
	;; [unrolled: 1-line block ×4, first 2 shown]
.LBB3_6:
	s_or_b64 exec, exec, s[2:3]
	v_cmp_gt_u32_e32 vcc, s21, v12
	s_and_saveexec_b64 s[2:3], vcc
	s_cbranch_execz .LBB3_8
; %bb.7:
	v_mov_b32_e32 v13, 0
	v_subrev_co_u32_e32 v16, vcc, s23, v12
	v_mov_b32_e32 v17, v13
	v_lshl_add_u64 v[14:15], v[12:13], 2, s[0:1]
	v_lshl_add_u64 v[16:17], v[16:17], 2, s[4:5]
	v_cndmask_b32_e32 v15, v17, v15, vcc
	v_cndmask_b32_e32 v14, v16, v14, vcc
	global_load_dword v3, v[14:15], off
.LBB3_8:
	s_or_b64 exec, exec, s[2:3]
	v_add_u32_e32 v12, v12, v1
	v_cmp_gt_u32_e32 vcc, s21, v12
	s_and_saveexec_b64 s[2:3], vcc
	s_cbranch_execz .LBB3_10
; %bb.9:
	v_mov_b32_e32 v13, 0
	v_subrev_co_u32_e32 v16, vcc, s23, v12
	v_mov_b32_e32 v17, v13
	v_lshl_add_u64 v[14:15], v[12:13], 2, s[0:1]
	v_lshl_add_u64 v[16:17], v[16:17], 2, s[4:5]
	v_cndmask_b32_e32 v15, v17, v15, vcc
	v_cndmask_b32_e32 v14, v16, v14, vcc
	global_load_dword v4, v[14:15], off
.LBB3_10:
	s_or_b64 exec, exec, s[2:3]
	v_add_u32_e32 v12, v12, v1
	;; [unrolled: 15-line block ×6, first 2 shown]
	v_cmp_gt_u32_e32 vcc, s21, v12
	s_and_saveexec_b64 s[2:3], vcc
	s_cbranch_execz .LBB3_20
; %bb.19:
	v_mov_b32_e32 v13, 0
	v_lshl_add_u64 v[14:15], v[12:13], 2, s[0:1]
	v_subrev_co_u32_e32 v12, vcc, s23, v12
	v_lshl_add_u64 v[12:13], v[12:13], 2, s[4:5]
	s_nop 0
	v_cndmask_b32_e32 v13, v13, v15, vcc
	v_cndmask_b32_e32 v12, v12, v14, vcc
	global_load_dword v9, v[12:13], off
.LBB3_20:
	s_or_b64 exec, exec, s[2:3]
.LBB3_21:
	v_lshlrev_b32_e32 v11, 3, v0
	v_min_u32_e32 v1, s21, v11
	v_sub_u32_e64 v12, v1, s33 clamp
	v_min_u32_e32 v13, s23, v1
	v_cmp_lt_u32_e32 vcc, v12, v13
	s_waitcnt vmcnt(0)
	ds_write2st64_b32 v10, v2, v3 offset1:2
	ds_write2st64_b32 v10, v4, v5 offset0:4 offset1:6
	ds_write2st64_b32 v10, v6, v7 offset0:8 offset1:10
	;; [unrolled: 1-line block ×3, first 2 shown]
	s_waitcnt lgkmcnt(0)
	s_barrier
	s_and_saveexec_b64 s[0:1], vcc
	s_cbranch_execz .LBB3_25
; %bb.22:
	v_lshlrev_b32_e32 v14, 2, v1
	v_lshl_add_u32 v14, s23, 2, v14
	s_mov_b64 s[2:3], 0
.LBB3_23:                               ; =>This Inner Loop Header: Depth=1
	v_add_u32_e32 v15, v13, v12
	v_lshrrev_b32_e32 v15, 1, v15
	v_not_b32_e32 v16, v15
	v_lshlrev_b32_e32 v17, 2, v15
	v_lshl_add_u32 v16, v16, 2, v14
	ds_read_b32 v17, v17
	ds_read_b32 v16, v16
	v_add_u32_e32 v18, 1, v15
	s_waitcnt lgkmcnt(0)
	v_cmp_gt_i32_e32 vcc, v16, v17
	s_nop 1
	v_cndmask_b32_e32 v13, v13, v15, vcc
	v_cndmask_b32_e32 v12, v18, v12, vcc
	v_cmp_ge_u32_e32 vcc, v12, v13
	s_or_b64 s[2:3], vcc, s[2:3]
	s_andn2_b64 exec, exec, s[2:3]
	s_cbranch_execnz .LBB3_23
; %bb.24:
	s_or_b64 exec, exec, s[2:3]
.LBB3_25:
	s_or_b64 exec, exec, s[0:1]
	v_sub_u32_e32 v1, v1, v12
	v_add_u32_e32 v13, s23, v1
	v_cmp_ge_u32_e32 vcc, s23, v12
	v_cmp_ge_u32_e64 s[0:1], s21, v13
	s_or_b64 s[0:1], vcc, s[0:1]
	v_mov_b32_e32 v18, 0
	v_mov_b32_e32 v23, 0
	;; [unrolled: 1-line block ×8, first 2 shown]
	s_and_saveexec_b64 s[30:31], s[0:1]
	s_cbranch_execz .LBB3_31
; %bb.26:
	v_cmp_gt_u32_e32 vcc, s23, v12
                                        ; implicit-def: $vgpr1
	s_and_saveexec_b64 s[0:1], vcc
; %bb.27:
	v_lshlrev_b32_e32 v1, 2, v12
	ds_read_b32 v1, v1
; %bb.28:
	s_or_b64 exec, exec, s[0:1]
	v_cmp_le_u32_e64 s[0:1], s21, v13
	v_cmp_gt_u32_e64 s[2:3], s21, v13
                                        ; implicit-def: $vgpr2
	s_and_saveexec_b64 s[4:5], s[2:3]
; %bb.29:
	v_lshlrev_b32_e32 v2, 2, v13
	ds_read_b32 v2, v2
; %bb.30:
	s_or_b64 exec, exec, s[4:5]
	s_waitcnt lgkmcnt(0)
	v_cmp_le_i32_e64 s[2:3], v2, v1
	s_and_b64 s[2:3], vcc, s[2:3]
	s_or_b64 vcc, s[0:1], s[2:3]
	v_mov_b32_e32 v5, s21
	v_mov_b32_e32 v6, s23
	v_cndmask_b32_e32 v16, v13, v12, vcc
	v_cndmask_b32_e32 v3, v5, v6, vcc
	v_add_u32_e32 v4, 1, v16
	v_add_u32_e32 v3, -1, v3
	v_min_u32_e32 v3, v4, v3
	v_lshlrev_b32_e32 v3, 2, v3
	ds_read_b32 v3, v3
	v_cndmask_b32_e32 v8, v4, v13, vcc
	v_cndmask_b32_e32 v4, v12, v4, vcc
	v_cmp_gt_u32_e64 s[2:3], s23, v4
	v_cmp_le_u32_e64 s[0:1], s21, v8
	s_waitcnt lgkmcnt(0)
	v_cndmask_b32_e32 v7, v3, v2, vcc
	v_cndmask_b32_e32 v3, v1, v3, vcc
	v_cmp_le_i32_e64 s[4:5], v7, v3
	s_and_b64 s[2:3], s[2:3], s[4:5]
	s_or_b64 s[0:1], s[0:1], s[2:3]
	v_cndmask_b32_e64 v17, v8, v4, s[0:1]
	v_cndmask_b32_e64 v9, v5, v6, s[0:1]
	v_add_u32_e32 v12, 1, v17
	v_add_u32_e32 v9, -1, v9
	v_min_u32_e32 v9, v12, v9
	v_lshlrev_b32_e32 v9, 2, v9
	ds_read_b32 v9, v9
	v_cndmask_b32_e64 v4, v4, v12, s[0:1]
	v_cndmask_b32_e64 v8, v12, v8, s[0:1]
	v_cmp_gt_u32_e64 s[4:5], s23, v4
	v_cmp_le_u32_e64 s[2:3], s21, v8
	s_waitcnt lgkmcnt(0)
	v_cndmask_b32_e64 v13, v9, v7, s[0:1]
	v_cndmask_b32_e64 v9, v3, v9, s[0:1]
	v_cmp_le_i32_e64 s[6:7], v13, v9
	s_and_b64 s[4:5], s[4:5], s[6:7]
	s_or_b64 s[2:3], s[2:3], s[4:5]
	v_cndmask_b32_e64 v19, v8, v4, s[2:3]
	v_cndmask_b32_e64 v12, v5, v6, s[2:3]
	v_add_u32_e32 v14, 1, v19
	v_add_u32_e32 v12, -1, v12
	v_min_u32_e32 v12, v14, v12
	v_lshlrev_b32_e32 v12, 2, v12
	ds_read_b32 v12, v12
	v_cndmask_b32_e64 v4, v4, v14, s[2:3]
	v_cndmask_b32_e64 v8, v14, v8, s[2:3]
	v_cmp_gt_u32_e64 s[6:7], s23, v4
	v_cmp_le_u32_e64 s[4:5], s21, v8
	s_waitcnt lgkmcnt(0)
	v_cndmask_b32_e64 v15, v12, v13, s[2:3]
	v_cndmask_b32_e64 v12, v9, v12, s[2:3]
	;; [unrolled: 17-line block ×4, first 2 shown]
	v_cmp_le_i32_e64 s[12:13], v25, v18
	s_and_b64 s[10:11], s[10:11], s[12:13]
	s_or_b64 s[8:9], s[8:9], s[10:11]
	v_cndmask_b32_e64 v22, v8, v23, s[8:9]
	v_cndmask_b32_e64 v4, v5, v6, s[8:9]
	v_add_u32_e32 v26, 1, v22
	v_add_u32_e32 v4, -1, v4
	v_min_u32_e32 v4, v26, v4
	v_lshlrev_b32_e32 v4, 2, v4
	ds_read_b32 v27, v4
	v_cndmask_b32_e32 v2, v2, v1, vcc
	v_cndmask_b32_e64 v4, v13, v9, s[2:3]
	v_cndmask_b32_e64 v13, v26, v8, s[8:9]
	;; [unrolled: 1-line block ×3, first 2 shown]
	s_waitcnt lgkmcnt(0)
	v_cndmask_b32_e64 v1, v27, v25, s[8:9]
	v_cndmask_b32_e64 v9, v18, v27, s[8:9]
	;; [unrolled: 1-line block ×3, first 2 shown]
	v_cmp_gt_u32_e64 s[0:1], s23, v26
	v_cmp_le_i32_e64 s[2:3], v1, v9
	v_cmp_le_u32_e32 vcc, s21, v13
	s_and_b64 s[0:1], s[0:1], s[2:3]
	s_or_b64 vcc, vcc, s[0:1]
	v_cndmask_b32_e32 v23, v13, v26, vcc
	v_cndmask_b32_e32 v5, v5, v6, vcc
	v_add_u32_e32 v27, 1, v23
	v_add_u32_e32 v5, -1, v5
	v_min_u32_e32 v5, v27, v5
	v_lshlrev_b32_e32 v5, 2, v5
	ds_read_b32 v28, v5
	v_cndmask_b32_e64 v5, v15, v12, s[4:5]
	v_cndmask_b32_e32 v8, v1, v9, vcc
	v_cndmask_b32_e32 v12, v27, v13, vcc
	;; [unrolled: 1-line block ×3, first 2 shown]
	s_waitcnt lgkmcnt(0)
	v_cndmask_b32_e32 v1, v28, v1, vcc
	v_cndmask_b32_e32 v9, v9, v28, vcc
	v_cmp_gt_u32_e64 s[0:1], s23, v13
	v_cmp_le_i32_e64 s[2:3], v1, v9
	v_cmp_le_u32_e32 vcc, s21, v12
	s_and_b64 s[0:1], s[0:1], s[2:3]
	s_or_b64 vcc, vcc, s[0:1]
	v_cndmask_b32_e64 v6, v24, v14, s[6:7]
	v_cndmask_b32_e64 v7, v25, v18, s[8:9]
	v_cndmask_b32_e32 v18, v12, v13, vcc
	v_cndmask_b32_e32 v9, v1, v9, vcc
.LBB3_31:
	s_or_b64 exec, exec, s[30:31]
	s_add_u32 s8, s16, s26
	s_addc_u32 s9, s17, 0
	s_add_u32 s6, s16, s28
	v_cndmask_b32_e64 v12, 0, 1, s[24:25]
	v_mov_b32_e32 v1, 0
	s_addc_u32 s7, s17, 0
	v_cmp_gt_u32_e64 s[4:5], s23, v0
	v_cmp_ne_u32_e64 s[0:1], 1, v12
	s_andn2_b64 vcc, exec, s[24:25]
	v_cmp_le_u32_e64 s[2:3], s23, v0
	s_barrier
	s_cbranch_vccnz .LBB3_33
; %bb.32:
	v_subrev_u32_e32 v14, s23, v0
	v_mov_b32_e32 v15, v1
	v_lshl_add_u64 v[12:13], s[8:9], 0, v[0:1]
	v_lshl_add_u64 v[14:15], s[6:7], 0, v[14:15]
	v_cndmask_b32_e64 v13, v15, v13, s[4:5]
	v_cndmask_b32_e64 v12, v14, v12, s[4:5]
	global_load_ubyte v25, v[12:13], off
	v_or_b32_e32 v13, 0x80, v0
	v_subrev_u32_e32 v12, s23, v13
	v_mov_b32_e32 v26, s7
	v_mov_b32_e32 v27, s9
	v_cmp_gt_u32_e32 vcc, s23, v13
	v_mov_b32_e32 v28, s6
	v_mov_b32_e32 v29, s8
	v_min_u32_e32 v12, v13, v12
	v_cndmask_b32_e32 v15, v26, v27, vcc
	v_cndmask_b32_e32 v14, v28, v29, vcc
	v_mov_b32_e32 v13, v1
	v_lshl_add_u64 v[12:13], v[14:15], 0, v[12:13]
	global_load_ubyte v30, v[12:13], off
	v_or_b32_e32 v13, 0x100, v0
	v_subrev_u32_e32 v12, s23, v13
	v_cmp_gt_u32_e32 vcc, s23, v13
	v_min_u32_e32 v12, v13, v12
	v_mov_b32_e32 v13, v1
	v_cndmask_b32_e32 v15, v26, v27, vcc
	v_cndmask_b32_e32 v14, v28, v29, vcc
	v_lshl_add_u64 v[12:13], v[14:15], 0, v[12:13]
	global_load_ubyte v31, v[12:13], off
	v_or_b32_e32 v13, 0x180, v0
	v_subrev_u32_e32 v12, s23, v13
	v_cmp_gt_u32_e32 vcc, s23, v13
	v_min_u32_e32 v12, v13, v12
	v_mov_b32_e32 v13, v1
	v_cndmask_b32_e32 v15, v26, v27, vcc
	v_cndmask_b32_e32 v14, v28, v29, vcc
	v_lshl_add_u64 v[12:13], v[14:15], 0, v[12:13]
	global_load_ubyte v32, v[12:13], off
	v_or_b32_e32 v13, 0x200, v0
	v_subrev_u32_e32 v12, s23, v13
	v_cmp_gt_u32_e32 vcc, s23, v13
	v_min_u32_e32 v12, v13, v12
	v_mov_b32_e32 v13, v1
	v_cndmask_b32_e32 v15, v26, v27, vcc
	v_cndmask_b32_e32 v14, v28, v29, vcc
	v_lshl_add_u64 v[12:13], v[14:15], 0, v[12:13]
	global_load_ubyte v33, v[12:13], off
	v_or_b32_e32 v13, 0x280, v0
	v_subrev_u32_e32 v12, s23, v13
	v_cmp_gt_u32_e32 vcc, s23, v13
	v_min_u32_e32 v12, v13, v12
	v_mov_b32_e32 v13, v1
	v_cndmask_b32_e32 v15, v26, v27, vcc
	v_cndmask_b32_e32 v14, v28, v29, vcc
	v_lshl_add_u64 v[12:13], v[14:15], 0, v[12:13]
	global_load_ubyte v34, v[12:13], off
	v_or_b32_e32 v13, 0x300, v0
	v_subrev_u32_e32 v12, s23, v13
	v_cmp_gt_u32_e32 vcc, s23, v13
	v_min_u32_e32 v12, v13, v12
	v_mov_b32_e32 v13, v1
	v_cndmask_b32_e32 v15, v26, v27, vcc
	v_cndmask_b32_e32 v14, v28, v29, vcc
	v_lshl_add_u64 v[12:13], v[14:15], 0, v[12:13]
	global_load_ubyte v15, v[12:13], off
	v_or_b32_e32 v24, 0x380, v0
	v_subrev_u32_e32 v12, s23, v24
	v_cmp_gt_u32_e32 vcc, s23, v24
	v_min_u32_e32 v14, v24, v12
	s_nop 0
	v_cndmask_b32_e32 v13, v26, v27, vcc
	v_cndmask_b32_e32 v12, v28, v29, vcc
	s_mov_b64 s[4:5], -1
	s_waitcnt vmcnt(6)
	ds_write_b8 v0, v25
	s_waitcnt vmcnt(5)
	ds_write_b8 v0, v30 offset:128
	s_waitcnt vmcnt(4)
	ds_write_b8 v0, v31 offset:256
	;; [unrolled: 2-line block ×6, first 2 shown]
	s_cbranch_execz .LBB3_34
	s_branch .LBB3_67
.LBB3_33:
	s_mov_b64 s[4:5], 0
                                        ; implicit-def: $vgpr24
                                        ; implicit-def: $vgpr12_vgpr13
                                        ; implicit-def: $vgpr14
.LBB3_34:
	s_and_saveexec_b64 s[4:5], s[2:3]
	s_xor_b64 s[2:3], exec, s[4:5]
	s_cbranch_execz .LBB3_38
; %bb.35:
	v_subrev_u32_e32 v12, s23, v0
	v_cmp_gt_u32_e32 vcc, s33, v12
	s_and_saveexec_b64 s[4:5], vcc
	s_cbranch_execz .LBB3_37
; %bb.36:
	global_load_ubyte v12, v12, s[6:7]
	s_waitcnt vmcnt(0)
	ds_write_b8 v0, v12
.LBB3_37:
	s_or_b64 exec, exec, s[4:5]
.LBB3_38:
	s_andn2_saveexec_b64 s[2:3], s[2:3]
	s_cbranch_execz .LBB3_40
; %bb.39:
	v_lshl_add_u64 v[12:13], s[8:9], 0, v[0:1]
	global_load_ubyte v1, v[12:13], off
	s_waitcnt vmcnt(0)
	ds_write_b8 v0, v1
.LBB3_40:
	s_or_b64 exec, exec, s[2:3]
	v_or_b32_e32 v12, 0x80, v0
	v_cmp_le_u32_e32 vcc, s23, v12
	s_mov_b64 s[2:3], -1
	v_mov_b64_e32 v[14:15], s[26:27]
	s_and_saveexec_b64 s[4:5], vcc
; %bb.41:
	v_subrev_u32_e32 v12, s23, v12
	v_cmp_gt_u32_e32 vcc, s33, v12
	v_mov_b64_e32 v[14:15], s[28:29]
	s_orn2_b64 s[2:3], vcc, exec
; %bb.42:
	s_or_b64 exec, exec, s[4:5]
	s_and_saveexec_b64 s[4:5], s[2:3]
	s_cbranch_execz .LBB3_44
; %bb.43:
	v_lshl_add_u64 v[14:15], s[16:17], 0, v[14:15]
	v_mov_b32_e32 v13, 0
	v_lshl_add_u64 v[12:13], v[14:15], 0, v[12:13]
	global_load_ubyte v1, v[12:13], off
	s_waitcnt vmcnt(0)
	ds_write_b8 v0, v1 offset:128
.LBB3_44:
	s_or_b64 exec, exec, s[4:5]
	v_or_b32_e32 v12, 0x100, v0
	v_cmp_le_u32_e32 vcc, s23, v12
	s_mov_b64 s[2:3], -1
	v_mov_b64_e32 v[14:15], s[26:27]
	s_and_saveexec_b64 s[4:5], vcc
; %bb.45:
	v_subrev_u32_e32 v12, s23, v12
	v_cmp_gt_u32_e32 vcc, s33, v12
	v_mov_b64_e32 v[14:15], s[28:29]
	s_orn2_b64 s[2:3], vcc, exec
; %bb.46:
	s_or_b64 exec, exec, s[4:5]
	s_and_saveexec_b64 s[4:5], s[2:3]
	s_cbranch_execz .LBB3_48
; %bb.47:
	v_lshl_add_u64 v[14:15], s[16:17], 0, v[14:15]
	v_mov_b32_e32 v13, 0
	v_lshl_add_u64 v[12:13], v[14:15], 0, v[12:13]
	global_load_ubyte v1, v[12:13], off
	s_waitcnt vmcnt(0)
	ds_write_b8 v0, v1 offset:256
.LBB3_48:
	;; [unrolled: 23-line block ×6, first 2 shown]
	s_or_b64 exec, exec, s[4:5]
	v_or_b32_e32 v24, 0x380, v0
	v_cmp_le_u32_e32 vcc, s23, v24
	s_mov_b64 s[4:5], -1
	v_mov_b64_e32 v[12:13], s[8:9]
	v_mov_b32_e32 v14, v24
	s_and_saveexec_b64 s[2:3], vcc
; %bb.65:
	v_subrev_u32_e32 v14, s23, v24
	v_cmp_gt_u32_e32 vcc, s33, v14
	v_mov_b64_e32 v[12:13], s[6:7]
	s_orn2_b64 s[4:5], vcc, exec
; %bb.66:
	s_or_b64 exec, exec, s[2:3]
.LBB3_67:
	s_and_saveexec_b64 s[2:3], s[4:5]
	s_cbranch_execz .LBB3_69
; %bb.68:
	v_mov_b32_e32 v15, 0
	v_lshl_add_u64 v[12:13], v[12:13], 0, v[14:15]
	global_load_ubyte v1, v[12:13], off
	s_waitcnt vmcnt(0)
	ds_write_b8 v24, v1
.LBB3_69:
	s_or_b64 exec, exec, s[2:3]
	s_and_b64 vcc, exec, s[0:1]
	v_add_u32_e32 v12, s22, v11
	s_waitcnt lgkmcnt(0)
	s_barrier
	s_cbranch_vccnz .LBB3_71
; %bb.70:
	ds_read_u8 v1, v23
	ds_read_u8 v14, v17
	;; [unrolled: 1-line block ×7, first 2 shown]
	s_mov_b32 s0, 0xc0c0004
	s_waitcnt lgkmcnt(4)
	v_perm_b32 v14, v15, v14, s0
	s_waitcnt lgkmcnt(2)
	v_perm_b32 v15, v25, v24, s0
	v_mov_b32_e32 v13, 0
	v_lshl_or_b32 v14, v15, 16, v14
	s_waitcnt lgkmcnt(0)
	v_perm_b32 v15, v27, v26, s0
	s_mov_b64 s[0:1], -1
	global_store_byte v12, v1, s[18:19] offset:6
	global_store_short v12, v15, s[18:19] offset:4
	global_store_dword v12, v14, s[18:19]
	s_cbranch_execz .LBB3_72
	s_branch .LBB3_89
.LBB3_71:
	s_mov_b64 s[0:1], 0
.LBB3_72:
	v_cmp_gt_u32_e32 vcc, s21, v11
	s_and_saveexec_b64 s[2:3], vcc
	s_cbranch_execz .LBB3_74
; %bb.73:
	ds_read_u8 v1, v16
	s_waitcnt lgkmcnt(0)
	global_store_byte v12, v1, s[18:19]
.LBB3_74:
	s_or_b64 exec, exec, s[2:3]
	v_or_b32_e32 v1, 1, v11
	v_cmp_gt_u32_e32 vcc, s21, v1
	s_and_saveexec_b64 s[2:3], vcc
	s_cbranch_execz .LBB3_76
; %bb.75:
	ds_read_u8 v1, v17
	s_waitcnt lgkmcnt(0)
	global_store_byte v12, v1, s[18:19] offset:1
.LBB3_76:
	s_or_b64 exec, exec, s[2:3]
	v_or_b32_e32 v1, 2, v11
	v_cmp_gt_u32_e32 vcc, s21, v1
	s_and_saveexec_b64 s[2:3], vcc
	s_cbranch_execz .LBB3_78
; %bb.77:
	ds_read_u8 v1, v19
	s_waitcnt lgkmcnt(0)
	global_store_byte v12, v1, s[18:19] offset:2
.LBB3_78:
	;; [unrolled: 10-line block ×6, first 2 shown]
	s_or_b64 exec, exec, s[2:3]
	v_or_b32_e32 v1, 7, v11
	v_cmp_gt_u32_e32 vcc, s21, v1
	s_and_saveexec_b64 s[2:3], vcc
; %bb.87:
	v_mov_b32_e32 v13, 0
	s_or_b64 s[0:1], s[0:1], exec
; %bb.88:
	s_or_b64 exec, exec, s[2:3]
.LBB3_89:
	s_and_saveexec_b64 s[2:3], s[0:1]
	s_cbranch_execz .LBB3_91
; %bb.90:
	ds_read_u8 v1, v18
	v_lshl_add_u64 v[12:13], s[18:19], 0, v[12:13]
	s_waitcnt lgkmcnt(0)
	global_store_byte v[12:13], v1, off offset:7
.LBB3_91:
	s_or_b64 exec, exec, s[2:3]
	v_and_b32_e32 v1, 0x7c, v0
	v_lshl_add_u32 v1, v11, 2, v1
	s_barrier
	s_barrier
	ds_write2_b32 v1, v2, v3 offset1:1
	ds_write2_b32 v1, v4, v5 offset0:2 offset1:3
	ds_write2_b32 v1, v6, v7 offset0:4 offset1:5
	ds_write2_b32 v1, v8, v9 offset0:6 offset1:7
	v_lshrrev_b32_e32 v1, 3, v0
	v_and_b32_e32 v1, 12, v1
	v_or_b32_e32 v9, 0x80, v0
	v_add_u32_e32 v11, v1, v10
	v_lshrrev_b32_e32 v1, 3, v9
	v_and_b32_e32 v1, 28, v1
	v_or_b32_e32 v8, 0x100, v0
	v_add_u32_e32 v12, v1, v10
	;; [unrolled: 4-line block ×6, first 2 shown]
	v_lshrrev_b32_e32 v1, 3, v4
	v_and_b32_e32 v1, 0x6c, v1
	s_mov_b32 s23, 0
	v_add_u32_e32 v17, v1, v10
	v_or_b32_e32 v1, 0x380, v0
	s_lshl_b64 s[0:1], s[22:23], 2
	v_lshrrev_b32_e32 v2, 3, v1
	s_add_u32 s0, s14, s0
	v_and_b32_e32 v2, 0x7c, v2
	s_addc_u32 s1, s15, s1
	v_add_u32_e32 v18, v2, v10
	v_lshlrev_b32_e32 v2, 2, v0
	v_mov_b32_e32 v3, 0
	v_lshl_add_u64 v[2:3], s[0:1], 0, v[2:3]
	s_and_b64 vcc, exec, s[24:25]
	s_waitcnt lgkmcnt(0)
	s_cbranch_vccz .LBB3_93
; %bb.92:
	s_barrier
	ds_read_b32 v10, v11
	ds_read_b32 v19, v12 offset:512
	ds_read_b32 v20, v13 offset:1024
	;; [unrolled: 1-line block ×7, first 2 shown]
	s_waitcnt lgkmcnt(7)
	global_store_dword v[2:3], v10, off
	s_waitcnt lgkmcnt(6)
	global_store_dword v[2:3], v19, off offset:512
	s_waitcnt lgkmcnt(5)
	global_store_dword v[2:3], v20, off offset:1024
	;; [unrolled: 2-line block ×6, first 2 shown]
	s_mov_b64 s[0:1], -1
	s_cbranch_execz .LBB3_94
	s_branch .LBB3_103
.LBB3_93:
	s_mov_b64 s[0:1], 0
                                        ; implicit-def: $vgpr21
.LBB3_94:
	s_barrier
	s_waitcnt lgkmcnt(0)
	ds_read_b32 v20, v12 offset:512
	ds_read_b32 v19, v13 offset:1024
	;; [unrolled: 1-line block ×7, first 2 shown]
	s_sub_i32 s2, s20, s22
	v_cmp_gt_u32_e32 vcc, s2, v0
	s_and_saveexec_b64 s[0:1], vcc
	s_cbranch_execnz .LBB3_106
; %bb.95:
	s_or_b64 exec, exec, s[0:1]
	v_cmp_gt_u32_e32 vcc, s2, v9
	s_and_saveexec_b64 s[0:1], vcc
	s_cbranch_execnz .LBB3_107
.LBB3_96:
	s_or_b64 exec, exec, s[0:1]
	v_cmp_gt_u32_e32 vcc, s2, v8
	s_and_saveexec_b64 s[0:1], vcc
	s_cbranch_execnz .LBB3_108
.LBB3_97:
	s_or_b64 exec, exec, s[0:1]
	v_cmp_gt_u32_e32 vcc, s2, v7
	s_and_saveexec_b64 s[0:1], vcc
	s_cbranch_execnz .LBB3_109
.LBB3_98:
	s_or_b64 exec, exec, s[0:1]
	v_cmp_gt_u32_e32 vcc, s2, v6
	s_and_saveexec_b64 s[0:1], vcc
	s_cbranch_execnz .LBB3_110
.LBB3_99:
	s_or_b64 exec, exec, s[0:1]
	v_cmp_gt_u32_e32 vcc, s2, v5
	s_and_saveexec_b64 s[0:1], vcc
	s_cbranch_execnz .LBB3_111
.LBB3_100:
	s_or_b64 exec, exec, s[0:1]
	v_cmp_gt_u32_e32 vcc, s2, v4
	s_and_saveexec_b64 s[0:1], vcc
	s_cbranch_execz .LBB3_102
.LBB3_101:
	s_waitcnt lgkmcnt(1)
	global_store_dword v[2:3], v10, off offset:3072
.LBB3_102:
	s_or_b64 exec, exec, s[0:1]
	v_cmp_gt_u32_e64 s[0:1], s2, v1
.LBB3_103:
	s_and_saveexec_b64 s[2:3], s[0:1]
	s_cbranch_execz .LBB3_105
; %bb.104:
	s_waitcnt lgkmcnt(0)
	global_store_dword v[2:3], v21, off offset:3584
.LBB3_105:
	s_endpgm
.LBB3_106:
	ds_read_b32 v0, v11
	s_waitcnt lgkmcnt(0)
	global_store_dword v[2:3], v0, off
	s_or_b64 exec, exec, s[0:1]
	v_cmp_gt_u32_e32 vcc, s2, v9
	s_and_saveexec_b64 s[0:1], vcc
	s_cbranch_execz .LBB3_96
.LBB3_107:
	s_waitcnt lgkmcnt(6)
	global_store_dword v[2:3], v20, off offset:512
	s_or_b64 exec, exec, s[0:1]
	v_cmp_gt_u32_e32 vcc, s2, v8
	s_and_saveexec_b64 s[0:1], vcc
	s_cbranch_execz .LBB3_97
.LBB3_108:
	s_waitcnt lgkmcnt(5)
	global_store_dword v[2:3], v19, off offset:1024
	s_or_b64 exec, exec, s[0:1]
	v_cmp_gt_u32_e32 vcc, s2, v7
	s_and_saveexec_b64 s[0:1], vcc
	s_cbranch_execz .LBB3_98
.LBB3_109:
	s_waitcnt lgkmcnt(4)
	global_store_dword v[2:3], v14, off offset:1536
	s_or_b64 exec, exec, s[0:1]
	v_cmp_gt_u32_e32 vcc, s2, v6
	s_and_saveexec_b64 s[0:1], vcc
	s_cbranch_execz .LBB3_99
.LBB3_110:
	s_waitcnt lgkmcnt(3)
	global_store_dword v[2:3], v13, off offset:2048
	s_or_b64 exec, exec, s[0:1]
	v_cmp_gt_u32_e32 vcc, s2, v5
	s_and_saveexec_b64 s[0:1], vcc
	s_cbranch_execz .LBB3_100
.LBB3_111:
	s_waitcnt lgkmcnt(2)
	global_store_dword v[2:3], v12, off offset:2560
	s_or_b64 exec, exec, s[0:1]
	v_cmp_gt_u32_e32 vcc, s2, v4
	s_and_saveexec_b64 s[0:1], vcc
	s_cbranch_execnz .LBB3_101
	s_branch .LBB3_102
	.section	.rodata,"a",@progbits
	.p2align	6, 0x0
	.amdhsa_kernel _ZN7rocprim17ROCPRIM_304000_NS6detail35device_block_merge_mergepath_kernelINS1_37wrapped_merge_sort_block_merge_configINS0_14default_configEiN2at4cuda3cub6detail10OpaqueTypeILi1EEEEEPiSC_PSA_SD_jNS1_19radix_merge_compareILb1ELb0EiNS0_19identity_decomposerEEEEEvT0_T1_T2_T3_T4_SL_jT5_PKSL_NS1_7vsmem_tE
		.amdhsa_group_segment_fixed_size 4224
		.amdhsa_private_segment_fixed_size 0
		.amdhsa_kernarg_size 320
		.amdhsa_user_sgpr_count 2
		.amdhsa_user_sgpr_dispatch_ptr 0
		.amdhsa_user_sgpr_queue_ptr 0
		.amdhsa_user_sgpr_kernarg_segment_ptr 1
		.amdhsa_user_sgpr_dispatch_id 0
		.amdhsa_user_sgpr_kernarg_preload_length 0
		.amdhsa_user_sgpr_kernarg_preload_offset 0
		.amdhsa_user_sgpr_private_segment_size 0
		.amdhsa_uses_dynamic_stack 0
		.amdhsa_enable_private_segment 0
		.amdhsa_system_sgpr_workgroup_id_x 1
		.amdhsa_system_sgpr_workgroup_id_y 1
		.amdhsa_system_sgpr_workgroup_id_z 1
		.amdhsa_system_sgpr_workgroup_info 0
		.amdhsa_system_vgpr_workitem_id 0
		.amdhsa_next_free_vgpr 35
		.amdhsa_next_free_sgpr 34
		.amdhsa_accum_offset 36
		.amdhsa_reserve_vcc 1
		.amdhsa_float_round_mode_32 0
		.amdhsa_float_round_mode_16_64 0
		.amdhsa_float_denorm_mode_32 3
		.amdhsa_float_denorm_mode_16_64 3
		.amdhsa_dx10_clamp 1
		.amdhsa_ieee_mode 1
		.amdhsa_fp16_overflow 0
		.amdhsa_tg_split 0
		.amdhsa_exception_fp_ieee_invalid_op 0
		.amdhsa_exception_fp_denorm_src 0
		.amdhsa_exception_fp_ieee_div_zero 0
		.amdhsa_exception_fp_ieee_overflow 0
		.amdhsa_exception_fp_ieee_underflow 0
		.amdhsa_exception_fp_ieee_inexact 0
		.amdhsa_exception_int_div_zero 0
	.end_amdhsa_kernel
	.section	.text._ZN7rocprim17ROCPRIM_304000_NS6detail35device_block_merge_mergepath_kernelINS1_37wrapped_merge_sort_block_merge_configINS0_14default_configEiN2at4cuda3cub6detail10OpaqueTypeILi1EEEEEPiSC_PSA_SD_jNS1_19radix_merge_compareILb1ELb0EiNS0_19identity_decomposerEEEEEvT0_T1_T2_T3_T4_SL_jT5_PKSL_NS1_7vsmem_tE,"axG",@progbits,_ZN7rocprim17ROCPRIM_304000_NS6detail35device_block_merge_mergepath_kernelINS1_37wrapped_merge_sort_block_merge_configINS0_14default_configEiN2at4cuda3cub6detail10OpaqueTypeILi1EEEEEPiSC_PSA_SD_jNS1_19radix_merge_compareILb1ELb0EiNS0_19identity_decomposerEEEEEvT0_T1_T2_T3_T4_SL_jT5_PKSL_NS1_7vsmem_tE,comdat
.Lfunc_end3:
	.size	_ZN7rocprim17ROCPRIM_304000_NS6detail35device_block_merge_mergepath_kernelINS1_37wrapped_merge_sort_block_merge_configINS0_14default_configEiN2at4cuda3cub6detail10OpaqueTypeILi1EEEEEPiSC_PSA_SD_jNS1_19radix_merge_compareILb1ELb0EiNS0_19identity_decomposerEEEEEvT0_T1_T2_T3_T4_SL_jT5_PKSL_NS1_7vsmem_tE, .Lfunc_end3-_ZN7rocprim17ROCPRIM_304000_NS6detail35device_block_merge_mergepath_kernelINS1_37wrapped_merge_sort_block_merge_configINS0_14default_configEiN2at4cuda3cub6detail10OpaqueTypeILi1EEEEEPiSC_PSA_SD_jNS1_19radix_merge_compareILb1ELb0EiNS0_19identity_decomposerEEEEEvT0_T1_T2_T3_T4_SL_jT5_PKSL_NS1_7vsmem_tE
                                        ; -- End function
	.set _ZN7rocprim17ROCPRIM_304000_NS6detail35device_block_merge_mergepath_kernelINS1_37wrapped_merge_sort_block_merge_configINS0_14default_configEiN2at4cuda3cub6detail10OpaqueTypeILi1EEEEEPiSC_PSA_SD_jNS1_19radix_merge_compareILb1ELb0EiNS0_19identity_decomposerEEEEEvT0_T1_T2_T3_T4_SL_jT5_PKSL_NS1_7vsmem_tE.num_vgpr, 35
	.set _ZN7rocprim17ROCPRIM_304000_NS6detail35device_block_merge_mergepath_kernelINS1_37wrapped_merge_sort_block_merge_configINS0_14default_configEiN2at4cuda3cub6detail10OpaqueTypeILi1EEEEEPiSC_PSA_SD_jNS1_19radix_merge_compareILb1ELb0EiNS0_19identity_decomposerEEEEEvT0_T1_T2_T3_T4_SL_jT5_PKSL_NS1_7vsmem_tE.num_agpr, 0
	.set _ZN7rocprim17ROCPRIM_304000_NS6detail35device_block_merge_mergepath_kernelINS1_37wrapped_merge_sort_block_merge_configINS0_14default_configEiN2at4cuda3cub6detail10OpaqueTypeILi1EEEEEPiSC_PSA_SD_jNS1_19radix_merge_compareILb1ELb0EiNS0_19identity_decomposerEEEEEvT0_T1_T2_T3_T4_SL_jT5_PKSL_NS1_7vsmem_tE.numbered_sgpr, 34
	.set _ZN7rocprim17ROCPRIM_304000_NS6detail35device_block_merge_mergepath_kernelINS1_37wrapped_merge_sort_block_merge_configINS0_14default_configEiN2at4cuda3cub6detail10OpaqueTypeILi1EEEEEPiSC_PSA_SD_jNS1_19radix_merge_compareILb1ELb0EiNS0_19identity_decomposerEEEEEvT0_T1_T2_T3_T4_SL_jT5_PKSL_NS1_7vsmem_tE.num_named_barrier, 0
	.set _ZN7rocprim17ROCPRIM_304000_NS6detail35device_block_merge_mergepath_kernelINS1_37wrapped_merge_sort_block_merge_configINS0_14default_configEiN2at4cuda3cub6detail10OpaqueTypeILi1EEEEEPiSC_PSA_SD_jNS1_19radix_merge_compareILb1ELb0EiNS0_19identity_decomposerEEEEEvT0_T1_T2_T3_T4_SL_jT5_PKSL_NS1_7vsmem_tE.private_seg_size, 0
	.set _ZN7rocprim17ROCPRIM_304000_NS6detail35device_block_merge_mergepath_kernelINS1_37wrapped_merge_sort_block_merge_configINS0_14default_configEiN2at4cuda3cub6detail10OpaqueTypeILi1EEEEEPiSC_PSA_SD_jNS1_19radix_merge_compareILb1ELb0EiNS0_19identity_decomposerEEEEEvT0_T1_T2_T3_T4_SL_jT5_PKSL_NS1_7vsmem_tE.uses_vcc, 1
	.set _ZN7rocprim17ROCPRIM_304000_NS6detail35device_block_merge_mergepath_kernelINS1_37wrapped_merge_sort_block_merge_configINS0_14default_configEiN2at4cuda3cub6detail10OpaqueTypeILi1EEEEEPiSC_PSA_SD_jNS1_19radix_merge_compareILb1ELb0EiNS0_19identity_decomposerEEEEEvT0_T1_T2_T3_T4_SL_jT5_PKSL_NS1_7vsmem_tE.uses_flat_scratch, 0
	.set _ZN7rocprim17ROCPRIM_304000_NS6detail35device_block_merge_mergepath_kernelINS1_37wrapped_merge_sort_block_merge_configINS0_14default_configEiN2at4cuda3cub6detail10OpaqueTypeILi1EEEEEPiSC_PSA_SD_jNS1_19radix_merge_compareILb1ELb0EiNS0_19identity_decomposerEEEEEvT0_T1_T2_T3_T4_SL_jT5_PKSL_NS1_7vsmem_tE.has_dyn_sized_stack, 0
	.set _ZN7rocprim17ROCPRIM_304000_NS6detail35device_block_merge_mergepath_kernelINS1_37wrapped_merge_sort_block_merge_configINS0_14default_configEiN2at4cuda3cub6detail10OpaqueTypeILi1EEEEEPiSC_PSA_SD_jNS1_19radix_merge_compareILb1ELb0EiNS0_19identity_decomposerEEEEEvT0_T1_T2_T3_T4_SL_jT5_PKSL_NS1_7vsmem_tE.has_recursion, 0
	.set _ZN7rocprim17ROCPRIM_304000_NS6detail35device_block_merge_mergepath_kernelINS1_37wrapped_merge_sort_block_merge_configINS0_14default_configEiN2at4cuda3cub6detail10OpaqueTypeILi1EEEEEPiSC_PSA_SD_jNS1_19radix_merge_compareILb1ELb0EiNS0_19identity_decomposerEEEEEvT0_T1_T2_T3_T4_SL_jT5_PKSL_NS1_7vsmem_tE.has_indirect_call, 0
	.section	.AMDGPU.csdata,"",@progbits
; Kernel info:
; codeLenInByte = 5092
; TotalNumSgprs: 40
; NumVgprs: 35
; NumAgprs: 0
; TotalNumVgprs: 35
; ScratchSize: 0
; MemoryBound: 0
; FloatMode: 240
; IeeeMode: 1
; LDSByteSize: 4224 bytes/workgroup (compile time only)
; SGPRBlocks: 4
; VGPRBlocks: 4
; NumSGPRsForWavesPerEU: 40
; NumVGPRsForWavesPerEU: 35
; AccumOffset: 36
; Occupancy: 8
; WaveLimiterHint : 1
; COMPUTE_PGM_RSRC2:SCRATCH_EN: 0
; COMPUTE_PGM_RSRC2:USER_SGPR: 2
; COMPUTE_PGM_RSRC2:TRAP_HANDLER: 0
; COMPUTE_PGM_RSRC2:TGID_X_EN: 1
; COMPUTE_PGM_RSRC2:TGID_Y_EN: 1
; COMPUTE_PGM_RSRC2:TGID_Z_EN: 1
; COMPUTE_PGM_RSRC2:TIDIG_COMP_CNT: 0
; COMPUTE_PGM_RSRC3_GFX90A:ACCUM_OFFSET: 8
; COMPUTE_PGM_RSRC3_GFX90A:TG_SPLIT: 0
	.section	.text._ZN7rocprim17ROCPRIM_304000_NS6detail33device_block_merge_oddeven_kernelINS1_37wrapped_merge_sort_block_merge_configINS0_14default_configEiN2at4cuda3cub6detail10OpaqueTypeILi1EEEEEPiSC_PSA_SD_jNS1_19radix_merge_compareILb1ELb0EiNS0_19identity_decomposerEEEEEvT0_T1_T2_T3_T4_SL_T5_,"axG",@progbits,_ZN7rocprim17ROCPRIM_304000_NS6detail33device_block_merge_oddeven_kernelINS1_37wrapped_merge_sort_block_merge_configINS0_14default_configEiN2at4cuda3cub6detail10OpaqueTypeILi1EEEEEPiSC_PSA_SD_jNS1_19radix_merge_compareILb1ELb0EiNS0_19identity_decomposerEEEEEvT0_T1_T2_T3_T4_SL_T5_,comdat
	.protected	_ZN7rocprim17ROCPRIM_304000_NS6detail33device_block_merge_oddeven_kernelINS1_37wrapped_merge_sort_block_merge_configINS0_14default_configEiN2at4cuda3cub6detail10OpaqueTypeILi1EEEEEPiSC_PSA_SD_jNS1_19radix_merge_compareILb1ELb0EiNS0_19identity_decomposerEEEEEvT0_T1_T2_T3_T4_SL_T5_ ; -- Begin function _ZN7rocprim17ROCPRIM_304000_NS6detail33device_block_merge_oddeven_kernelINS1_37wrapped_merge_sort_block_merge_configINS0_14default_configEiN2at4cuda3cub6detail10OpaqueTypeILi1EEEEEPiSC_PSA_SD_jNS1_19radix_merge_compareILb1ELb0EiNS0_19identity_decomposerEEEEEvT0_T1_T2_T3_T4_SL_T5_
	.globl	_ZN7rocprim17ROCPRIM_304000_NS6detail33device_block_merge_oddeven_kernelINS1_37wrapped_merge_sort_block_merge_configINS0_14default_configEiN2at4cuda3cub6detail10OpaqueTypeILi1EEEEEPiSC_PSA_SD_jNS1_19radix_merge_compareILb1ELb0EiNS0_19identity_decomposerEEEEEvT0_T1_T2_T3_T4_SL_T5_
	.p2align	8
	.type	_ZN7rocprim17ROCPRIM_304000_NS6detail33device_block_merge_oddeven_kernelINS1_37wrapped_merge_sort_block_merge_configINS0_14default_configEiN2at4cuda3cub6detail10OpaqueTypeILi1EEEEEPiSC_PSA_SD_jNS1_19radix_merge_compareILb1ELb0EiNS0_19identity_decomposerEEEEEvT0_T1_T2_T3_T4_SL_T5_,@function
_ZN7rocprim17ROCPRIM_304000_NS6detail33device_block_merge_oddeven_kernelINS1_37wrapped_merge_sort_block_merge_configINS0_14default_configEiN2at4cuda3cub6detail10OpaqueTypeILi1EEEEEPiSC_PSA_SD_jNS1_19radix_merge_compareILb1ELb0EiNS0_19identity_decomposerEEEEEvT0_T1_T2_T3_T4_SL_T5_: ; @_ZN7rocprim17ROCPRIM_304000_NS6detail33device_block_merge_oddeven_kernelINS1_37wrapped_merge_sort_block_merge_configINS0_14default_configEiN2at4cuda3cub6detail10OpaqueTypeILi1EEEEEPiSC_PSA_SD_jNS1_19radix_merge_compareILb1ELb0EiNS0_19identity_decomposerEEEEEvT0_T1_T2_T3_T4_SL_T5_
; %bb.0:
	s_load_dwordx2 s[16:17], s[0:1], 0x20
	s_waitcnt lgkmcnt(0)
	s_lshr_b32 s3, s16, 8
	s_cmp_eq_u32 s2, s3
	s_cselect_b64 s[6:7], -1, 0
	s_cmp_lg_u32 s2, s3
	s_cselect_b64 s[8:9], -1, 0
	s_lshl_b32 s18, s2, 8
	s_sub_i32 s3, s16, s18
	v_cmp_gt_u32_e64 s[4:5], s3, v0
	s_or_b64 s[8:9], s[8:9], s[4:5]
	s_and_saveexec_b64 s[10:11], s[8:9]
	s_cbranch_execz .LBB4_24
; %bb.1:
	s_load_dwordx8 s[8:15], s[0:1], 0x0
	s_mov_b32 s19, 0
	s_lshl_b64 s[0:1], s[18:19], 2
	v_lshlrev_b32_e32 v1, 2, v0
	s_waitcnt lgkmcnt(0)
	s_add_u32 s0, s8, s0
	s_addc_u32 s1, s9, s1
	s_add_u32 s12, s12, s18
	s_addc_u32 s13, s13, 0
	global_load_ubyte v2, v0, s[12:13]
	global_load_dword v3, v1, s[0:1]
	s_lshr_b32 s0, s17, 8
	s_sub_i32 s1, 0, s0
	s_and_b32 s1, s2, s1
	s_and_b32 s0, s1, s0
	s_lshl_b32 s19, s1, 8
	s_sub_i32 s12, 0, s17
	s_cmp_eq_u32 s0, 0
	s_cselect_b64 s[0:1], -1, 0
	s_and_b64 s[2:3], s[0:1], exec
	s_cselect_b32 s12, s17, s12
	s_add_i32 s12, s12, s19
	s_mov_b64 s[2:3], -1
	s_cmp_gt_u32 s16, s12
	v_add_u32_e32 v0, s18, v0
	s_cbranch_scc1 .LBB4_9
; %bb.2:
	s_and_b64 vcc, exec, s[6:7]
	s_cbranch_vccz .LBB4_6
; %bb.3:
	v_cmp_gt_u32_e32 vcc, s16, v0
	s_and_saveexec_b64 s[2:3], vcc
	s_cbranch_execz .LBB4_5
; %bb.4:
	v_mov_b32_e32 v1, 0
	v_lshl_add_u64 v[4:5], v[0:1], 2, s[10:11]
	s_waitcnt vmcnt(0)
	global_store_dword v[4:5], v3, off
	global_store_byte v0, v2, s[14:15]
.LBB4_5:
	s_or_b64 exec, exec, s[2:3]
	s_mov_b64 s[2:3], 0
.LBB4_6:
	s_andn2_b64 vcc, exec, s[2:3]
	s_cbranch_vccnz .LBB4_8
; %bb.7:
	v_mov_b32_e32 v1, 0
	v_lshl_add_u64 v[4:5], v[0:1], 2, s[10:11]
	s_waitcnt vmcnt(0)
	global_store_dword v[4:5], v3, off
	global_store_byte v0, v2, s[14:15]
.LBB4_8:
	s_mov_b64 s[2:3], 0
.LBB4_9:
	s_andn2_b64 vcc, exec, s[2:3]
	s_cbranch_vccnz .LBB4_24
; %bb.10:
	s_min_u32 s13, s12, s16
	s_add_i32 s2, s13, s17
	s_min_u32 s16, s2, s16
	s_min_u32 s2, s19, s13
	s_add_i32 s19, s19, s13
	v_subrev_u32_e32 v0, s19, v0
	v_add_u32_e32 v4, s2, v0
	s_andn2_b64 vcc, exec, s[6:7]
	s_mov_b64 s[2:3], -1
	s_cbranch_vccnz .LBB4_18
; %bb.11:
	s_and_saveexec_b64 s[2:3], s[4:5]
	s_cbranch_execz .LBB4_17
; %bb.12:
	s_cmp_ge_u32 s12, s16
	v_mov_b32_e32 v5, s13
	s_cbranch_scc1 .LBB4_16
; %bb.13:
	s_mov_b64 s[4:5], 0
	v_mov_b32_e32 v6, s16
	v_mov_b32_e32 v5, s13
	;; [unrolled: 1-line block ×3, first 2 shown]
.LBB4_14:                               ; =>This Inner Loop Header: Depth=1
	v_add_u32_e32 v0, v5, v6
	v_lshrrev_b32_e32 v0, 1, v0
	v_lshl_add_u64 v[8:9], v[0:1], 2, s[8:9]
	global_load_dword v7, v[8:9], off
	v_add_u32_e32 v8, 1, v0
	s_waitcnt vmcnt(0)
	v_cmp_gt_i32_e32 vcc, v7, v3
	s_nop 1
	v_cndmask_b32_e64 v9, 0, 1, vcc
	v_cmp_le_i32_e32 vcc, v3, v7
	s_nop 1
	v_cndmask_b32_e64 v7, 0, 1, vcc
	v_cndmask_b32_e64 v7, v7, v9, s[0:1]
	v_and_b32_e32 v7, 1, v7
	v_cmp_eq_u32_e32 vcc, 1, v7
	s_nop 1
	v_cndmask_b32_e32 v6, v0, v6, vcc
	v_cndmask_b32_e32 v5, v5, v8, vcc
	v_cmp_ge_u32_e32 vcc, v5, v6
	s_or_b64 s[4:5], vcc, s[4:5]
	s_andn2_b64 exec, exec, s[4:5]
	s_cbranch_execnz .LBB4_14
; %bb.15:
	s_or_b64 exec, exec, s[4:5]
.LBB4_16:
	v_add_u32_e32 v0, v5, v4
	v_mov_b32_e32 v1, 0
	v_lshl_add_u64 v[6:7], v[0:1], 2, s[10:11]
	s_waitcnt vmcnt(0)
	global_store_dword v[6:7], v3, off
	global_store_byte v0, v2, s[14:15]
.LBB4_17:
	s_or_b64 exec, exec, s[2:3]
	s_mov_b64 s[2:3], 0
.LBB4_18:
	s_andn2_b64 vcc, exec, s[2:3]
	s_cbranch_vccnz .LBB4_24
; %bb.19:
	s_cmp_ge_u32 s12, s16
	v_mov_b32_e32 v5, s13
	s_cbranch_scc1 .LBB4_23
; %bb.20:
	s_mov_b64 s[2:3], 0
	v_mov_b32_e32 v6, s16
	v_mov_b32_e32 v5, s13
	;; [unrolled: 1-line block ×3, first 2 shown]
.LBB4_21:                               ; =>This Inner Loop Header: Depth=1
	v_add_u32_e32 v0, v5, v6
	v_lshrrev_b32_e32 v0, 1, v0
	v_lshl_add_u64 v[8:9], v[0:1], 2, s[8:9]
	global_load_dword v7, v[8:9], off
	v_add_u32_e32 v8, 1, v0
	s_waitcnt vmcnt(0)
	v_cmp_gt_i32_e32 vcc, v7, v3
	s_nop 1
	v_cndmask_b32_e64 v9, 0, 1, vcc
	v_cmp_le_i32_e32 vcc, v3, v7
	s_nop 1
	v_cndmask_b32_e64 v7, 0, 1, vcc
	v_cndmask_b32_e64 v7, v7, v9, s[0:1]
	v_and_b32_e32 v7, 1, v7
	v_cmp_eq_u32_e32 vcc, 1, v7
	s_nop 1
	v_cndmask_b32_e32 v6, v0, v6, vcc
	v_cndmask_b32_e32 v5, v5, v8, vcc
	v_cmp_ge_u32_e32 vcc, v5, v6
	s_or_b64 s[2:3], vcc, s[2:3]
	s_andn2_b64 exec, exec, s[2:3]
	s_cbranch_execnz .LBB4_21
; %bb.22:
	s_or_b64 exec, exec, s[2:3]
.LBB4_23:
	v_add_u32_e32 v0, v5, v4
	v_mov_b32_e32 v1, 0
	v_lshl_add_u64 v[4:5], v[0:1], 2, s[10:11]
	s_waitcnt vmcnt(0)
	global_store_dword v[4:5], v3, off
	global_store_byte v0, v2, s[14:15]
.LBB4_24:
	s_endpgm
	.section	.rodata,"a",@progbits
	.p2align	6, 0x0
	.amdhsa_kernel _ZN7rocprim17ROCPRIM_304000_NS6detail33device_block_merge_oddeven_kernelINS1_37wrapped_merge_sort_block_merge_configINS0_14default_configEiN2at4cuda3cub6detail10OpaqueTypeILi1EEEEEPiSC_PSA_SD_jNS1_19radix_merge_compareILb1ELb0EiNS0_19identity_decomposerEEEEEvT0_T1_T2_T3_T4_SL_T5_
		.amdhsa_group_segment_fixed_size 0
		.amdhsa_private_segment_fixed_size 0
		.amdhsa_kernarg_size 44
		.amdhsa_user_sgpr_count 2
		.amdhsa_user_sgpr_dispatch_ptr 0
		.amdhsa_user_sgpr_queue_ptr 0
		.amdhsa_user_sgpr_kernarg_segment_ptr 1
		.amdhsa_user_sgpr_dispatch_id 0
		.amdhsa_user_sgpr_kernarg_preload_length 0
		.amdhsa_user_sgpr_kernarg_preload_offset 0
		.amdhsa_user_sgpr_private_segment_size 0
		.amdhsa_uses_dynamic_stack 0
		.amdhsa_enable_private_segment 0
		.amdhsa_system_sgpr_workgroup_id_x 1
		.amdhsa_system_sgpr_workgroup_id_y 0
		.amdhsa_system_sgpr_workgroup_id_z 0
		.amdhsa_system_sgpr_workgroup_info 0
		.amdhsa_system_vgpr_workitem_id 0
		.amdhsa_next_free_vgpr 10
		.amdhsa_next_free_sgpr 20
		.amdhsa_accum_offset 12
		.amdhsa_reserve_vcc 1
		.amdhsa_float_round_mode_32 0
		.amdhsa_float_round_mode_16_64 0
		.amdhsa_float_denorm_mode_32 3
		.amdhsa_float_denorm_mode_16_64 3
		.amdhsa_dx10_clamp 1
		.amdhsa_ieee_mode 1
		.amdhsa_fp16_overflow 0
		.amdhsa_tg_split 0
		.amdhsa_exception_fp_ieee_invalid_op 0
		.amdhsa_exception_fp_denorm_src 0
		.amdhsa_exception_fp_ieee_div_zero 0
		.amdhsa_exception_fp_ieee_overflow 0
		.amdhsa_exception_fp_ieee_underflow 0
		.amdhsa_exception_fp_ieee_inexact 0
		.amdhsa_exception_int_div_zero 0
	.end_amdhsa_kernel
	.section	.text._ZN7rocprim17ROCPRIM_304000_NS6detail33device_block_merge_oddeven_kernelINS1_37wrapped_merge_sort_block_merge_configINS0_14default_configEiN2at4cuda3cub6detail10OpaqueTypeILi1EEEEEPiSC_PSA_SD_jNS1_19radix_merge_compareILb1ELb0EiNS0_19identity_decomposerEEEEEvT0_T1_T2_T3_T4_SL_T5_,"axG",@progbits,_ZN7rocprim17ROCPRIM_304000_NS6detail33device_block_merge_oddeven_kernelINS1_37wrapped_merge_sort_block_merge_configINS0_14default_configEiN2at4cuda3cub6detail10OpaqueTypeILi1EEEEEPiSC_PSA_SD_jNS1_19radix_merge_compareILb1ELb0EiNS0_19identity_decomposerEEEEEvT0_T1_T2_T3_T4_SL_T5_,comdat
.Lfunc_end4:
	.size	_ZN7rocprim17ROCPRIM_304000_NS6detail33device_block_merge_oddeven_kernelINS1_37wrapped_merge_sort_block_merge_configINS0_14default_configEiN2at4cuda3cub6detail10OpaqueTypeILi1EEEEEPiSC_PSA_SD_jNS1_19radix_merge_compareILb1ELb0EiNS0_19identity_decomposerEEEEEvT0_T1_T2_T3_T4_SL_T5_, .Lfunc_end4-_ZN7rocprim17ROCPRIM_304000_NS6detail33device_block_merge_oddeven_kernelINS1_37wrapped_merge_sort_block_merge_configINS0_14default_configEiN2at4cuda3cub6detail10OpaqueTypeILi1EEEEEPiSC_PSA_SD_jNS1_19radix_merge_compareILb1ELb0EiNS0_19identity_decomposerEEEEEvT0_T1_T2_T3_T4_SL_T5_
                                        ; -- End function
	.set _ZN7rocprim17ROCPRIM_304000_NS6detail33device_block_merge_oddeven_kernelINS1_37wrapped_merge_sort_block_merge_configINS0_14default_configEiN2at4cuda3cub6detail10OpaqueTypeILi1EEEEEPiSC_PSA_SD_jNS1_19radix_merge_compareILb1ELb0EiNS0_19identity_decomposerEEEEEvT0_T1_T2_T3_T4_SL_T5_.num_vgpr, 10
	.set _ZN7rocprim17ROCPRIM_304000_NS6detail33device_block_merge_oddeven_kernelINS1_37wrapped_merge_sort_block_merge_configINS0_14default_configEiN2at4cuda3cub6detail10OpaqueTypeILi1EEEEEPiSC_PSA_SD_jNS1_19radix_merge_compareILb1ELb0EiNS0_19identity_decomposerEEEEEvT0_T1_T2_T3_T4_SL_T5_.num_agpr, 0
	.set _ZN7rocprim17ROCPRIM_304000_NS6detail33device_block_merge_oddeven_kernelINS1_37wrapped_merge_sort_block_merge_configINS0_14default_configEiN2at4cuda3cub6detail10OpaqueTypeILi1EEEEEPiSC_PSA_SD_jNS1_19radix_merge_compareILb1ELb0EiNS0_19identity_decomposerEEEEEvT0_T1_T2_T3_T4_SL_T5_.numbered_sgpr, 20
	.set _ZN7rocprim17ROCPRIM_304000_NS6detail33device_block_merge_oddeven_kernelINS1_37wrapped_merge_sort_block_merge_configINS0_14default_configEiN2at4cuda3cub6detail10OpaqueTypeILi1EEEEEPiSC_PSA_SD_jNS1_19radix_merge_compareILb1ELb0EiNS0_19identity_decomposerEEEEEvT0_T1_T2_T3_T4_SL_T5_.num_named_barrier, 0
	.set _ZN7rocprim17ROCPRIM_304000_NS6detail33device_block_merge_oddeven_kernelINS1_37wrapped_merge_sort_block_merge_configINS0_14default_configEiN2at4cuda3cub6detail10OpaqueTypeILi1EEEEEPiSC_PSA_SD_jNS1_19radix_merge_compareILb1ELb0EiNS0_19identity_decomposerEEEEEvT0_T1_T2_T3_T4_SL_T5_.private_seg_size, 0
	.set _ZN7rocprim17ROCPRIM_304000_NS6detail33device_block_merge_oddeven_kernelINS1_37wrapped_merge_sort_block_merge_configINS0_14default_configEiN2at4cuda3cub6detail10OpaqueTypeILi1EEEEEPiSC_PSA_SD_jNS1_19radix_merge_compareILb1ELb0EiNS0_19identity_decomposerEEEEEvT0_T1_T2_T3_T4_SL_T5_.uses_vcc, 1
	.set _ZN7rocprim17ROCPRIM_304000_NS6detail33device_block_merge_oddeven_kernelINS1_37wrapped_merge_sort_block_merge_configINS0_14default_configEiN2at4cuda3cub6detail10OpaqueTypeILi1EEEEEPiSC_PSA_SD_jNS1_19radix_merge_compareILb1ELb0EiNS0_19identity_decomposerEEEEEvT0_T1_T2_T3_T4_SL_T5_.uses_flat_scratch, 0
	.set _ZN7rocprim17ROCPRIM_304000_NS6detail33device_block_merge_oddeven_kernelINS1_37wrapped_merge_sort_block_merge_configINS0_14default_configEiN2at4cuda3cub6detail10OpaqueTypeILi1EEEEEPiSC_PSA_SD_jNS1_19radix_merge_compareILb1ELb0EiNS0_19identity_decomposerEEEEEvT0_T1_T2_T3_T4_SL_T5_.has_dyn_sized_stack, 0
	.set _ZN7rocprim17ROCPRIM_304000_NS6detail33device_block_merge_oddeven_kernelINS1_37wrapped_merge_sort_block_merge_configINS0_14default_configEiN2at4cuda3cub6detail10OpaqueTypeILi1EEEEEPiSC_PSA_SD_jNS1_19radix_merge_compareILb1ELb0EiNS0_19identity_decomposerEEEEEvT0_T1_T2_T3_T4_SL_T5_.has_recursion, 0
	.set _ZN7rocprim17ROCPRIM_304000_NS6detail33device_block_merge_oddeven_kernelINS1_37wrapped_merge_sort_block_merge_configINS0_14default_configEiN2at4cuda3cub6detail10OpaqueTypeILi1EEEEEPiSC_PSA_SD_jNS1_19radix_merge_compareILb1ELb0EiNS0_19identity_decomposerEEEEEvT0_T1_T2_T3_T4_SL_T5_.has_indirect_call, 0
	.section	.AMDGPU.csdata,"",@progbits
; Kernel info:
; codeLenInByte = 708
; TotalNumSgprs: 26
; NumVgprs: 10
; NumAgprs: 0
; TotalNumVgprs: 10
; ScratchSize: 0
; MemoryBound: 0
; FloatMode: 240
; IeeeMode: 1
; LDSByteSize: 0 bytes/workgroup (compile time only)
; SGPRBlocks: 3
; VGPRBlocks: 1
; NumSGPRsForWavesPerEU: 26
; NumVGPRsForWavesPerEU: 10
; AccumOffset: 12
; Occupancy: 8
; WaveLimiterHint : 0
; COMPUTE_PGM_RSRC2:SCRATCH_EN: 0
; COMPUTE_PGM_RSRC2:USER_SGPR: 2
; COMPUTE_PGM_RSRC2:TRAP_HANDLER: 0
; COMPUTE_PGM_RSRC2:TGID_X_EN: 1
; COMPUTE_PGM_RSRC2:TGID_Y_EN: 0
; COMPUTE_PGM_RSRC2:TGID_Z_EN: 0
; COMPUTE_PGM_RSRC2:TIDIG_COMP_CNT: 0
; COMPUTE_PGM_RSRC3_GFX90A:ACCUM_OFFSET: 2
; COMPUTE_PGM_RSRC3_GFX90A:TG_SPLIT: 0
	.section	.text._ZN7rocprim17ROCPRIM_304000_NS6detail16transform_kernelINS1_24wrapped_transform_configINS0_14default_configEiEEiPiS6_NS0_8identityIiEEEEvT1_mT2_T3_,"axG",@progbits,_ZN7rocprim17ROCPRIM_304000_NS6detail16transform_kernelINS1_24wrapped_transform_configINS0_14default_configEiEEiPiS6_NS0_8identityIiEEEEvT1_mT2_T3_,comdat
	.protected	_ZN7rocprim17ROCPRIM_304000_NS6detail16transform_kernelINS1_24wrapped_transform_configINS0_14default_configEiEEiPiS6_NS0_8identityIiEEEEvT1_mT2_T3_ ; -- Begin function _ZN7rocprim17ROCPRIM_304000_NS6detail16transform_kernelINS1_24wrapped_transform_configINS0_14default_configEiEEiPiS6_NS0_8identityIiEEEEvT1_mT2_T3_
	.globl	_ZN7rocprim17ROCPRIM_304000_NS6detail16transform_kernelINS1_24wrapped_transform_configINS0_14default_configEiEEiPiS6_NS0_8identityIiEEEEvT1_mT2_T3_
	.p2align	8
	.type	_ZN7rocprim17ROCPRIM_304000_NS6detail16transform_kernelINS1_24wrapped_transform_configINS0_14default_configEiEEiPiS6_NS0_8identityIiEEEEvT1_mT2_T3_,@function
_ZN7rocprim17ROCPRIM_304000_NS6detail16transform_kernelINS1_24wrapped_transform_configINS0_14default_configEiEEiPiS6_NS0_8identityIiEEEEvT1_mT2_T3_: ; @_ZN7rocprim17ROCPRIM_304000_NS6detail16transform_kernelINS1_24wrapped_transform_configINS0_14default_configEiEEiPiS6_NS0_8identityIiEEEEvT1_mT2_T3_
; %bb.0:
	s_load_dword s3, s[0:1], 0x20
	s_load_dwordx4 s[4:7], s[0:1], 0x0
	s_load_dwordx2 s[8:9], s[0:1], 0x10
	s_lshl_b32 s0, s2, 8
	s_mov_b32 s1, 0
	s_waitcnt lgkmcnt(0)
	s_add_i32 s3, s3, -1
	s_lshl_b64 s[10:11], s[0:1], 2
	s_add_u32 s4, s4, s10
	s_addc_u32 s5, s5, s11
	v_mov_b32_e32 v3, 0
	v_lshlrev_b32_e32 v2, 2, v0
	s_cmp_lg_u32 s2, s3
	v_lshl_add_u64 v[4:5], s[4:5], 0, v[2:3]
	s_cbranch_scc0 .LBB5_2
; %bb.1:
	global_load_dword v3, v[4:5], off
	global_load_dword v1, v[4:5], off offset:512
	s_add_u32 s2, s8, s10
	s_addc_u32 s3, s9, s11
	s_waitcnt vmcnt(1)
	global_store_dword v2, v3, s[2:3]
	s_mov_b64 s[2:3], -1
	s_cbranch_execz .LBB5_3
	s_branch .LBB5_10
.LBB5_2:
	s_mov_b64 s[2:3], 0
                                        ; implicit-def: $vgpr1
.LBB5_3:
	s_sub_i32 s4, s6, s0
	v_mov_b32_e32 v6, 0
	v_cmp_gt_u32_e32 vcc, s4, v0
	v_mov_b32_e32 v7, v6
	s_and_saveexec_b64 s[0:1], vcc
	s_cbranch_execz .LBB5_5
; %bb.4:
	global_load_dword v8, v[4:5], off
	v_mov_b32_e32 v9, v6
	s_waitcnt vmcnt(0)
	v_mov_b64_e32 v[6:7], v[8:9]
.LBB5_5:
	s_or_b64 exec, exec, s[0:1]
	v_or_b32_e32 v0, 0x80, v0
	v_cmp_gt_u32_e64 s[0:1], s4, v0
	s_and_saveexec_b64 s[4:5], s[0:1]
	s_cbranch_execnz .LBB5_13
; %bb.6:
	s_or_b64 exec, exec, s[4:5]
	v_cndmask_b32_e32 v0, 0, v6, vcc
	s_and_saveexec_b64 s[4:5], vcc
	s_cbranch_execnz .LBB5_14
.LBB5_7:
	s_or_b64 exec, exec, s[4:5]
                                        ; implicit-def: $vgpr1
	s_and_saveexec_b64 s[4:5], s[0:1]
	s_cbranch_execz .LBB5_9
.LBB5_8:
	s_waitcnt vmcnt(0)
	v_cndmask_b32_e64 v1, 0, v7, s[0:1]
	s_or_b64 s[2:3], s[2:3], exec
.LBB5_9:
	s_or_b64 exec, exec, s[4:5]
.LBB5_10:
	s_and_saveexec_b64 s[0:1], s[2:3]
	s_cbranch_execnz .LBB5_12
; %bb.11:
	s_endpgm
.LBB5_12:
	s_add_u32 s0, s8, s10
	s_addc_u32 s1, s9, s11
	s_waitcnt vmcnt(1)
	global_store_dword v2, v1, s[0:1] offset:512
	s_endpgm
.LBB5_13:
	global_load_dword v7, v[4:5], off offset:512
	s_or_b64 exec, exec, s[4:5]
	v_cndmask_b32_e32 v0, 0, v6, vcc
	s_and_saveexec_b64 s[4:5], vcc
	s_cbranch_execz .LBB5_7
.LBB5_14:
	s_add_u32 s6, s8, s10
	s_addc_u32 s7, s9, s11
	global_store_dword v2, v0, s[6:7]
	s_or_b64 exec, exec, s[4:5]
                                        ; implicit-def: $vgpr1
	s_and_saveexec_b64 s[4:5], s[0:1]
	s_cbranch_execnz .LBB5_8
	s_branch .LBB5_9
	.section	.rodata,"a",@progbits
	.p2align	6, 0x0
	.amdhsa_kernel _ZN7rocprim17ROCPRIM_304000_NS6detail16transform_kernelINS1_24wrapped_transform_configINS0_14default_configEiEEiPiS6_NS0_8identityIiEEEEvT1_mT2_T3_
		.amdhsa_group_segment_fixed_size 0
		.amdhsa_private_segment_fixed_size 0
		.amdhsa_kernarg_size 288
		.amdhsa_user_sgpr_count 2
		.amdhsa_user_sgpr_dispatch_ptr 0
		.amdhsa_user_sgpr_queue_ptr 0
		.amdhsa_user_sgpr_kernarg_segment_ptr 1
		.amdhsa_user_sgpr_dispatch_id 0
		.amdhsa_user_sgpr_kernarg_preload_length 0
		.amdhsa_user_sgpr_kernarg_preload_offset 0
		.amdhsa_user_sgpr_private_segment_size 0
		.amdhsa_uses_dynamic_stack 0
		.amdhsa_enable_private_segment 0
		.amdhsa_system_sgpr_workgroup_id_x 1
		.amdhsa_system_sgpr_workgroup_id_y 0
		.amdhsa_system_sgpr_workgroup_id_z 0
		.amdhsa_system_sgpr_workgroup_info 0
		.amdhsa_system_vgpr_workitem_id 0
		.amdhsa_next_free_vgpr 10
		.amdhsa_next_free_sgpr 12
		.amdhsa_accum_offset 12
		.amdhsa_reserve_vcc 1
		.amdhsa_float_round_mode_32 0
		.amdhsa_float_round_mode_16_64 0
		.amdhsa_float_denorm_mode_32 3
		.amdhsa_float_denorm_mode_16_64 3
		.amdhsa_dx10_clamp 1
		.amdhsa_ieee_mode 1
		.amdhsa_fp16_overflow 0
		.amdhsa_tg_split 0
		.amdhsa_exception_fp_ieee_invalid_op 0
		.amdhsa_exception_fp_denorm_src 0
		.amdhsa_exception_fp_ieee_div_zero 0
		.amdhsa_exception_fp_ieee_overflow 0
		.amdhsa_exception_fp_ieee_underflow 0
		.amdhsa_exception_fp_ieee_inexact 0
		.amdhsa_exception_int_div_zero 0
	.end_amdhsa_kernel
	.section	.text._ZN7rocprim17ROCPRIM_304000_NS6detail16transform_kernelINS1_24wrapped_transform_configINS0_14default_configEiEEiPiS6_NS0_8identityIiEEEEvT1_mT2_T3_,"axG",@progbits,_ZN7rocprim17ROCPRIM_304000_NS6detail16transform_kernelINS1_24wrapped_transform_configINS0_14default_configEiEEiPiS6_NS0_8identityIiEEEEvT1_mT2_T3_,comdat
.Lfunc_end5:
	.size	_ZN7rocprim17ROCPRIM_304000_NS6detail16transform_kernelINS1_24wrapped_transform_configINS0_14default_configEiEEiPiS6_NS0_8identityIiEEEEvT1_mT2_T3_, .Lfunc_end5-_ZN7rocprim17ROCPRIM_304000_NS6detail16transform_kernelINS1_24wrapped_transform_configINS0_14default_configEiEEiPiS6_NS0_8identityIiEEEEvT1_mT2_T3_
                                        ; -- End function
	.set _ZN7rocprim17ROCPRIM_304000_NS6detail16transform_kernelINS1_24wrapped_transform_configINS0_14default_configEiEEiPiS6_NS0_8identityIiEEEEvT1_mT2_T3_.num_vgpr, 10
	.set _ZN7rocprim17ROCPRIM_304000_NS6detail16transform_kernelINS1_24wrapped_transform_configINS0_14default_configEiEEiPiS6_NS0_8identityIiEEEEvT1_mT2_T3_.num_agpr, 0
	.set _ZN7rocprim17ROCPRIM_304000_NS6detail16transform_kernelINS1_24wrapped_transform_configINS0_14default_configEiEEiPiS6_NS0_8identityIiEEEEvT1_mT2_T3_.numbered_sgpr, 12
	.set _ZN7rocprim17ROCPRIM_304000_NS6detail16transform_kernelINS1_24wrapped_transform_configINS0_14default_configEiEEiPiS6_NS0_8identityIiEEEEvT1_mT2_T3_.num_named_barrier, 0
	.set _ZN7rocprim17ROCPRIM_304000_NS6detail16transform_kernelINS1_24wrapped_transform_configINS0_14default_configEiEEiPiS6_NS0_8identityIiEEEEvT1_mT2_T3_.private_seg_size, 0
	.set _ZN7rocprim17ROCPRIM_304000_NS6detail16transform_kernelINS1_24wrapped_transform_configINS0_14default_configEiEEiPiS6_NS0_8identityIiEEEEvT1_mT2_T3_.uses_vcc, 1
	.set _ZN7rocprim17ROCPRIM_304000_NS6detail16transform_kernelINS1_24wrapped_transform_configINS0_14default_configEiEEiPiS6_NS0_8identityIiEEEEvT1_mT2_T3_.uses_flat_scratch, 0
	.set _ZN7rocprim17ROCPRIM_304000_NS6detail16transform_kernelINS1_24wrapped_transform_configINS0_14default_configEiEEiPiS6_NS0_8identityIiEEEEvT1_mT2_T3_.has_dyn_sized_stack, 0
	.set _ZN7rocprim17ROCPRIM_304000_NS6detail16transform_kernelINS1_24wrapped_transform_configINS0_14default_configEiEEiPiS6_NS0_8identityIiEEEEvT1_mT2_T3_.has_recursion, 0
	.set _ZN7rocprim17ROCPRIM_304000_NS6detail16transform_kernelINS1_24wrapped_transform_configINS0_14default_configEiEEiPiS6_NS0_8identityIiEEEEvT1_mT2_T3_.has_indirect_call, 0
	.section	.AMDGPU.csdata,"",@progbits
; Kernel info:
; codeLenInByte = 340
; TotalNumSgprs: 18
; NumVgprs: 10
; NumAgprs: 0
; TotalNumVgprs: 10
; ScratchSize: 0
; MemoryBound: 0
; FloatMode: 240
; IeeeMode: 1
; LDSByteSize: 0 bytes/workgroup (compile time only)
; SGPRBlocks: 2
; VGPRBlocks: 1
; NumSGPRsForWavesPerEU: 18
; NumVGPRsForWavesPerEU: 10
; AccumOffset: 12
; Occupancy: 8
; WaveLimiterHint : 1
; COMPUTE_PGM_RSRC2:SCRATCH_EN: 0
; COMPUTE_PGM_RSRC2:USER_SGPR: 2
; COMPUTE_PGM_RSRC2:TRAP_HANDLER: 0
; COMPUTE_PGM_RSRC2:TGID_X_EN: 1
; COMPUTE_PGM_RSRC2:TGID_Y_EN: 0
; COMPUTE_PGM_RSRC2:TGID_Z_EN: 0
; COMPUTE_PGM_RSRC2:TIDIG_COMP_CNT: 0
; COMPUTE_PGM_RSRC3_GFX90A:ACCUM_OFFSET: 2
; COMPUTE_PGM_RSRC3_GFX90A:TG_SPLIT: 0
	.section	.text._ZN7rocprim17ROCPRIM_304000_NS6detail16transform_kernelINS1_24wrapped_transform_configINS0_14default_configEN2at4cuda3cub6detail10OpaqueTypeILi1EEEEESA_PSA_SC_NS0_8identityISA_EEEEvT1_mT2_T3_,"axG",@progbits,_ZN7rocprim17ROCPRIM_304000_NS6detail16transform_kernelINS1_24wrapped_transform_configINS0_14default_configEN2at4cuda3cub6detail10OpaqueTypeILi1EEEEESA_PSA_SC_NS0_8identityISA_EEEEvT1_mT2_T3_,comdat
	.protected	_ZN7rocprim17ROCPRIM_304000_NS6detail16transform_kernelINS1_24wrapped_transform_configINS0_14default_configEN2at4cuda3cub6detail10OpaqueTypeILi1EEEEESA_PSA_SC_NS0_8identityISA_EEEEvT1_mT2_T3_ ; -- Begin function _ZN7rocprim17ROCPRIM_304000_NS6detail16transform_kernelINS1_24wrapped_transform_configINS0_14default_configEN2at4cuda3cub6detail10OpaqueTypeILi1EEEEESA_PSA_SC_NS0_8identityISA_EEEEvT1_mT2_T3_
	.globl	_ZN7rocprim17ROCPRIM_304000_NS6detail16transform_kernelINS1_24wrapped_transform_configINS0_14default_configEN2at4cuda3cub6detail10OpaqueTypeILi1EEEEESA_PSA_SC_NS0_8identityISA_EEEEvT1_mT2_T3_
	.p2align	8
	.type	_ZN7rocprim17ROCPRIM_304000_NS6detail16transform_kernelINS1_24wrapped_transform_configINS0_14default_configEN2at4cuda3cub6detail10OpaqueTypeILi1EEEEESA_PSA_SC_NS0_8identityISA_EEEEvT1_mT2_T3_,@function
_ZN7rocprim17ROCPRIM_304000_NS6detail16transform_kernelINS1_24wrapped_transform_configINS0_14default_configEN2at4cuda3cub6detail10OpaqueTypeILi1EEEEESA_PSA_SC_NS0_8identityISA_EEEEvT1_mT2_T3_: ; @_ZN7rocprim17ROCPRIM_304000_NS6detail16transform_kernelINS1_24wrapped_transform_configINS0_14default_configEN2at4cuda3cub6detail10OpaqueTypeILi1EEEEESA_PSA_SC_NS0_8identityISA_EEEEvT1_mT2_T3_
; %bb.0:
	s_load_dword s3, s[0:1], 0x20
	s_load_dwordx4 s[4:7], s[0:1], 0x0
	s_load_dwordx2 s[12:13], s[0:1], 0x10
	s_lshl_b32 s18, s2, 10
	v_mov_b32_e32 v1, 0
	s_waitcnt lgkmcnt(0)
	s_add_i32 s3, s3, -1
	s_add_u32 s0, s4, s18
	s_addc_u32 s1, s5, 0
	s_cmp_lg_u32 s2, s3
	v_lshl_add_u64 v[2:3], s[0:1], 0, v[0:1]
	s_cbranch_scc0 .LBB6_2
; %bb.1:
	global_load_ubyte v5, v[2:3], off
	global_load_ubyte v8, v[2:3], off offset:128
	global_load_ubyte v9, v[2:3], off offset:256
	;; [unrolled: 1-line block ×7, first 2 shown]
	s_add_u32 s2, s12, s18
	s_addc_u32 s3, s13, 0
	v_lshl_add_u64 v[6:7], s[2:3], 0, v[0:1]
	s_mov_b64 s[14:15], -1
	s_waitcnt vmcnt(7)
	global_store_byte v[6:7], v5, off
	s_waitcnt vmcnt(7)
	global_store_byte v[6:7], v8, off offset:128
	s_waitcnt vmcnt(7)
	global_store_byte v[6:7], v9, off offset:256
	;; [unrolled: 2-line block ×6, first 2 shown]
	s_cbranch_execz .LBB6_3
	s_branch .LBB6_28
.LBB6_2:
	s_mov_b64 s[14:15], 0
                                        ; implicit-def: $vgpr4
.LBB6_3:
	s_sub_i32 s16, s6, s18
	v_cmp_gt_u32_e32 vcc, s16, v0
                                        ; implicit-def: $vgpr5
	s_and_saveexec_b64 s[0:1], vcc
	s_cbranch_execz .LBB6_5
; %bb.4:
	global_load_ubyte v5, v[2:3], off
.LBB6_5:
	s_or_b64 exec, exec, s[0:1]
	s_waitcnt vmcnt(7)
	v_or_b32_e32 v4, 0x80, v0
	v_cmp_gt_u32_e64 s[0:1], s16, v4
                                        ; implicit-def: $vgpr6
	s_and_saveexec_b64 s[2:3], s[0:1]
	s_cbranch_execz .LBB6_7
; %bb.6:
	global_load_ubyte v6, v[2:3], off offset:128
.LBB6_7:
	s_or_b64 exec, exec, s[2:3]
	v_or_b32_e32 v4, 0x100, v0
	v_cmp_gt_u32_e64 s[2:3], s16, v4
                                        ; implicit-def: $vgpr7
	s_and_saveexec_b64 s[4:5], s[2:3]
	s_cbranch_execz .LBB6_9
; %bb.8:
	global_load_ubyte v7, v[2:3], off offset:256
.LBB6_9:
	s_or_b64 exec, exec, s[4:5]
	v_or_b32_e32 v4, 0x180, v0
	v_cmp_gt_u32_e64 s[4:5], s16, v4
                                        ; implicit-def: $vgpr8
	s_and_saveexec_b64 s[6:7], s[4:5]
	s_cbranch_execz .LBB6_11
; %bb.10:
	global_load_ubyte v8, v[2:3], off offset:384
.LBB6_11:
	s_or_b64 exec, exec, s[6:7]
	v_or_b32_e32 v4, 0x200, v0
	v_cmp_gt_u32_e64 s[6:7], s16, v4
                                        ; implicit-def: $vgpr9
	s_and_saveexec_b64 s[8:9], s[6:7]
	s_cbranch_execz .LBB6_13
; %bb.12:
	global_load_ubyte v9, v[2:3], off offset:512
.LBB6_13:
	s_or_b64 exec, exec, s[8:9]
	v_or_b32_e32 v4, 0x280, v0
	v_cmp_gt_u32_e64 s[8:9], s16, v4
                                        ; implicit-def: $vgpr10
	s_and_saveexec_b64 s[10:11], s[8:9]
	s_cbranch_execz .LBB6_15
; %bb.14:
	global_load_ubyte v10, v[2:3], off offset:640
.LBB6_15:
	s_or_b64 exec, exec, s[10:11]
	v_or_b32_e32 v4, 0x300, v0
	v_cmp_gt_u32_e64 s[10:11], s16, v4
                                        ; implicit-def: $vgpr11
	s_and_saveexec_b64 s[14:15], s[10:11]
	s_cbranch_execz .LBB6_17
; %bb.16:
	global_load_ubyte v11, v[2:3], off offset:768
.LBB6_17:
	s_or_b64 exec, exec, s[14:15]
	v_or_b32_e32 v4, 0x380, v0
	v_cmp_gt_u32_e64 s[14:15], s16, v4
                                        ; implicit-def: $vgpr4
	s_and_saveexec_b64 s[16:17], s[14:15]
	s_cbranch_execz .LBB6_19
; %bb.18:
	global_load_ubyte v4, v[2:3], off offset:896
.LBB6_19:
	s_or_b64 exec, exec, s[16:17]
	s_add_u32 s16, s12, s18
	s_addc_u32 s17, s13, 0
	v_lshl_add_u64 v[2:3], s[16:17], 0, v[0:1]
	s_and_saveexec_b64 s[16:17], vcc
	s_cbranch_execnz .LBB6_31
; %bb.20:
	s_or_b64 exec, exec, s[16:17]
	s_and_saveexec_b64 s[16:17], s[0:1]
	s_cbranch_execnz .LBB6_32
.LBB6_21:
	s_or_b64 exec, exec, s[16:17]
	s_and_saveexec_b64 s[0:1], s[2:3]
	s_cbranch_execnz .LBB6_33
.LBB6_22:
	s_or_b64 exec, exec, s[0:1]
	s_and_saveexec_b64 s[0:1], s[4:5]
	s_cbranch_execnz .LBB6_34
.LBB6_23:
	s_or_b64 exec, exec, s[0:1]
	s_and_saveexec_b64 s[0:1], s[6:7]
	s_cbranch_execnz .LBB6_35
.LBB6_24:
	s_or_b64 exec, exec, s[0:1]
	s_and_saveexec_b64 s[0:1], s[8:9]
	s_cbranch_execnz .LBB6_36
.LBB6_25:
	s_or_b64 exec, exec, s[0:1]
	s_and_saveexec_b64 s[0:1], s[10:11]
	s_cbranch_execz .LBB6_27
.LBB6_26:
	s_waitcnt vmcnt(0)
	global_store_byte v[2:3], v11, off offset:768
.LBB6_27:
	s_or_b64 exec, exec, s[0:1]
.LBB6_28:
	s_and_saveexec_b64 s[0:1], s[14:15]
	s_cbranch_execnz .LBB6_30
; %bb.29:
	s_endpgm
.LBB6_30:
	s_add_u32 s0, s12, s18
	s_addc_u32 s1, s13, 0
	v_lshl_add_u64 v[0:1], s[0:1], 0, v[0:1]
	s_waitcnt vmcnt(0)
	global_store_byte v[0:1], v4, off offset:896
	s_endpgm
.LBB6_31:
	s_waitcnt vmcnt(0)
	global_store_byte v[2:3], v5, off
	s_or_b64 exec, exec, s[16:17]
	s_and_saveexec_b64 s[16:17], s[0:1]
	s_cbranch_execz .LBB6_21
.LBB6_32:
	s_waitcnt vmcnt(0)
	global_store_byte v[2:3], v6, off offset:128
	s_or_b64 exec, exec, s[16:17]
	s_and_saveexec_b64 s[0:1], s[2:3]
	s_cbranch_execz .LBB6_22
.LBB6_33:
	s_waitcnt vmcnt(0)
	global_store_byte v[2:3], v7, off offset:256
	s_or_b64 exec, exec, s[0:1]
	s_and_saveexec_b64 s[0:1], s[4:5]
	s_cbranch_execz .LBB6_23
.LBB6_34:
	s_waitcnt vmcnt(0)
	global_store_byte v[2:3], v8, off offset:384
	s_or_b64 exec, exec, s[0:1]
	s_and_saveexec_b64 s[0:1], s[6:7]
	s_cbranch_execz .LBB6_24
.LBB6_35:
	s_waitcnt vmcnt(0)
	global_store_byte v[2:3], v9, off offset:512
	s_or_b64 exec, exec, s[0:1]
	s_and_saveexec_b64 s[0:1], s[8:9]
	s_cbranch_execz .LBB6_25
.LBB6_36:
	s_waitcnt vmcnt(0)
	global_store_byte v[2:3], v10, off offset:640
	s_or_b64 exec, exec, s[0:1]
	s_and_saveexec_b64 s[0:1], s[10:11]
	s_cbranch_execnz .LBB6_26
	s_branch .LBB6_27
	.section	.rodata,"a",@progbits
	.p2align	6, 0x0
	.amdhsa_kernel _ZN7rocprim17ROCPRIM_304000_NS6detail16transform_kernelINS1_24wrapped_transform_configINS0_14default_configEN2at4cuda3cub6detail10OpaqueTypeILi1EEEEESA_PSA_SC_NS0_8identityISA_EEEEvT1_mT2_T3_
		.amdhsa_group_segment_fixed_size 0
		.amdhsa_private_segment_fixed_size 0
		.amdhsa_kernarg_size 288
		.amdhsa_user_sgpr_count 2
		.amdhsa_user_sgpr_dispatch_ptr 0
		.amdhsa_user_sgpr_queue_ptr 0
		.amdhsa_user_sgpr_kernarg_segment_ptr 1
		.amdhsa_user_sgpr_dispatch_id 0
		.amdhsa_user_sgpr_kernarg_preload_length 0
		.amdhsa_user_sgpr_kernarg_preload_offset 0
		.amdhsa_user_sgpr_private_segment_size 0
		.amdhsa_uses_dynamic_stack 0
		.amdhsa_enable_private_segment 0
		.amdhsa_system_sgpr_workgroup_id_x 1
		.amdhsa_system_sgpr_workgroup_id_y 0
		.amdhsa_system_sgpr_workgroup_id_z 0
		.amdhsa_system_sgpr_workgroup_info 0
		.amdhsa_system_vgpr_workitem_id 0
		.amdhsa_next_free_vgpr 14
		.amdhsa_next_free_sgpr 19
		.amdhsa_accum_offset 16
		.amdhsa_reserve_vcc 1
		.amdhsa_float_round_mode_32 0
		.amdhsa_float_round_mode_16_64 0
		.amdhsa_float_denorm_mode_32 3
		.amdhsa_float_denorm_mode_16_64 3
		.amdhsa_dx10_clamp 1
		.amdhsa_ieee_mode 1
		.amdhsa_fp16_overflow 0
		.amdhsa_tg_split 0
		.amdhsa_exception_fp_ieee_invalid_op 0
		.amdhsa_exception_fp_denorm_src 0
		.amdhsa_exception_fp_ieee_div_zero 0
		.amdhsa_exception_fp_ieee_overflow 0
		.amdhsa_exception_fp_ieee_underflow 0
		.amdhsa_exception_fp_ieee_inexact 0
		.amdhsa_exception_int_div_zero 0
	.end_amdhsa_kernel
	.section	.text._ZN7rocprim17ROCPRIM_304000_NS6detail16transform_kernelINS1_24wrapped_transform_configINS0_14default_configEN2at4cuda3cub6detail10OpaqueTypeILi1EEEEESA_PSA_SC_NS0_8identityISA_EEEEvT1_mT2_T3_,"axG",@progbits,_ZN7rocprim17ROCPRIM_304000_NS6detail16transform_kernelINS1_24wrapped_transform_configINS0_14default_configEN2at4cuda3cub6detail10OpaqueTypeILi1EEEEESA_PSA_SC_NS0_8identityISA_EEEEvT1_mT2_T3_,comdat
.Lfunc_end6:
	.size	_ZN7rocprim17ROCPRIM_304000_NS6detail16transform_kernelINS1_24wrapped_transform_configINS0_14default_configEN2at4cuda3cub6detail10OpaqueTypeILi1EEEEESA_PSA_SC_NS0_8identityISA_EEEEvT1_mT2_T3_, .Lfunc_end6-_ZN7rocprim17ROCPRIM_304000_NS6detail16transform_kernelINS1_24wrapped_transform_configINS0_14default_configEN2at4cuda3cub6detail10OpaqueTypeILi1EEEEESA_PSA_SC_NS0_8identityISA_EEEEvT1_mT2_T3_
                                        ; -- End function
	.set _ZN7rocprim17ROCPRIM_304000_NS6detail16transform_kernelINS1_24wrapped_transform_configINS0_14default_configEN2at4cuda3cub6detail10OpaqueTypeILi1EEEEESA_PSA_SC_NS0_8identityISA_EEEEvT1_mT2_T3_.num_vgpr, 14
	.set _ZN7rocprim17ROCPRIM_304000_NS6detail16transform_kernelINS1_24wrapped_transform_configINS0_14default_configEN2at4cuda3cub6detail10OpaqueTypeILi1EEEEESA_PSA_SC_NS0_8identityISA_EEEEvT1_mT2_T3_.num_agpr, 0
	.set _ZN7rocprim17ROCPRIM_304000_NS6detail16transform_kernelINS1_24wrapped_transform_configINS0_14default_configEN2at4cuda3cub6detail10OpaqueTypeILi1EEEEESA_PSA_SC_NS0_8identityISA_EEEEvT1_mT2_T3_.numbered_sgpr, 19
	.set _ZN7rocprim17ROCPRIM_304000_NS6detail16transform_kernelINS1_24wrapped_transform_configINS0_14default_configEN2at4cuda3cub6detail10OpaqueTypeILi1EEEEESA_PSA_SC_NS0_8identityISA_EEEEvT1_mT2_T3_.num_named_barrier, 0
	.set _ZN7rocprim17ROCPRIM_304000_NS6detail16transform_kernelINS1_24wrapped_transform_configINS0_14default_configEN2at4cuda3cub6detail10OpaqueTypeILi1EEEEESA_PSA_SC_NS0_8identityISA_EEEEvT1_mT2_T3_.private_seg_size, 0
	.set _ZN7rocprim17ROCPRIM_304000_NS6detail16transform_kernelINS1_24wrapped_transform_configINS0_14default_configEN2at4cuda3cub6detail10OpaqueTypeILi1EEEEESA_PSA_SC_NS0_8identityISA_EEEEvT1_mT2_T3_.uses_vcc, 1
	.set _ZN7rocprim17ROCPRIM_304000_NS6detail16transform_kernelINS1_24wrapped_transform_configINS0_14default_configEN2at4cuda3cub6detail10OpaqueTypeILi1EEEEESA_PSA_SC_NS0_8identityISA_EEEEvT1_mT2_T3_.uses_flat_scratch, 0
	.set _ZN7rocprim17ROCPRIM_304000_NS6detail16transform_kernelINS1_24wrapped_transform_configINS0_14default_configEN2at4cuda3cub6detail10OpaqueTypeILi1EEEEESA_PSA_SC_NS0_8identityISA_EEEEvT1_mT2_T3_.has_dyn_sized_stack, 0
	.set _ZN7rocprim17ROCPRIM_304000_NS6detail16transform_kernelINS1_24wrapped_transform_configINS0_14default_configEN2at4cuda3cub6detail10OpaqueTypeILi1EEEEESA_PSA_SC_NS0_8identityISA_EEEEvT1_mT2_T3_.has_recursion, 0
	.set _ZN7rocprim17ROCPRIM_304000_NS6detail16transform_kernelINS1_24wrapped_transform_configINS0_14default_configEN2at4cuda3cub6detail10OpaqueTypeILi1EEEEESA_PSA_SC_NS0_8identityISA_EEEEvT1_mT2_T3_.has_indirect_call, 0
	.section	.AMDGPU.csdata,"",@progbits
; Kernel info:
; codeLenInByte = 832
; TotalNumSgprs: 25
; NumVgprs: 14
; NumAgprs: 0
; TotalNumVgprs: 14
; ScratchSize: 0
; MemoryBound: 0
; FloatMode: 240
; IeeeMode: 1
; LDSByteSize: 0 bytes/workgroup (compile time only)
; SGPRBlocks: 3
; VGPRBlocks: 1
; NumSGPRsForWavesPerEU: 25
; NumVGPRsForWavesPerEU: 14
; AccumOffset: 16
; Occupancy: 8
; WaveLimiterHint : 1
; COMPUTE_PGM_RSRC2:SCRATCH_EN: 0
; COMPUTE_PGM_RSRC2:USER_SGPR: 2
; COMPUTE_PGM_RSRC2:TRAP_HANDLER: 0
; COMPUTE_PGM_RSRC2:TGID_X_EN: 1
; COMPUTE_PGM_RSRC2:TGID_Y_EN: 0
; COMPUTE_PGM_RSRC2:TGID_Z_EN: 0
; COMPUTE_PGM_RSRC2:TIDIG_COMP_CNT: 0
; COMPUTE_PGM_RSRC3_GFX90A:ACCUM_OFFSET: 3
; COMPUTE_PGM_RSRC3_GFX90A:TG_SPLIT: 0
	.section	.text._ZN7rocprim17ROCPRIM_304000_NS6detail45device_block_merge_mergepath_partition_kernelINS1_37wrapped_merge_sort_block_merge_configINS0_14default_configEiN2at4cuda3cub6detail10OpaqueTypeILi1EEEEEPijNS1_19radix_merge_compareILb1ELb1EiNS0_19identity_decomposerEEEEEvT0_T1_jPSH_T2_SH_,"axG",@progbits,_ZN7rocprim17ROCPRIM_304000_NS6detail45device_block_merge_mergepath_partition_kernelINS1_37wrapped_merge_sort_block_merge_configINS0_14default_configEiN2at4cuda3cub6detail10OpaqueTypeILi1EEEEEPijNS1_19radix_merge_compareILb1ELb1EiNS0_19identity_decomposerEEEEEvT0_T1_jPSH_T2_SH_,comdat
	.protected	_ZN7rocprim17ROCPRIM_304000_NS6detail45device_block_merge_mergepath_partition_kernelINS1_37wrapped_merge_sort_block_merge_configINS0_14default_configEiN2at4cuda3cub6detail10OpaqueTypeILi1EEEEEPijNS1_19radix_merge_compareILb1ELb1EiNS0_19identity_decomposerEEEEEvT0_T1_jPSH_T2_SH_ ; -- Begin function _ZN7rocprim17ROCPRIM_304000_NS6detail45device_block_merge_mergepath_partition_kernelINS1_37wrapped_merge_sort_block_merge_configINS0_14default_configEiN2at4cuda3cub6detail10OpaqueTypeILi1EEEEEPijNS1_19radix_merge_compareILb1ELb1EiNS0_19identity_decomposerEEEEEvT0_T1_jPSH_T2_SH_
	.globl	_ZN7rocprim17ROCPRIM_304000_NS6detail45device_block_merge_mergepath_partition_kernelINS1_37wrapped_merge_sort_block_merge_configINS0_14default_configEiN2at4cuda3cub6detail10OpaqueTypeILi1EEEEEPijNS1_19radix_merge_compareILb1ELb1EiNS0_19identity_decomposerEEEEEvT0_T1_jPSH_T2_SH_
	.p2align	8
	.type	_ZN7rocprim17ROCPRIM_304000_NS6detail45device_block_merge_mergepath_partition_kernelINS1_37wrapped_merge_sort_block_merge_configINS0_14default_configEiN2at4cuda3cub6detail10OpaqueTypeILi1EEEEEPijNS1_19radix_merge_compareILb1ELb1EiNS0_19identity_decomposerEEEEEvT0_T1_jPSH_T2_SH_,@function
_ZN7rocprim17ROCPRIM_304000_NS6detail45device_block_merge_mergepath_partition_kernelINS1_37wrapped_merge_sort_block_merge_configINS0_14default_configEiN2at4cuda3cub6detail10OpaqueTypeILi1EEEEEPijNS1_19radix_merge_compareILb1ELb1EiNS0_19identity_decomposerEEEEEvT0_T1_jPSH_T2_SH_: ; @_ZN7rocprim17ROCPRIM_304000_NS6detail45device_block_merge_mergepath_partition_kernelINS1_37wrapped_merge_sort_block_merge_configINS0_14default_configEiN2at4cuda3cub6detail10OpaqueTypeILi1EEEEEPijNS1_19radix_merge_compareILb1ELb1EiNS0_19identity_decomposerEEEEEvT0_T1_jPSH_T2_SH_
; %bb.0:
	s_load_dwordx2 s[4:5], s[0:1], 0x8
	v_lshl_or_b32 v0, s2, 7, v0
	s_waitcnt lgkmcnt(0)
	v_cmp_gt_u32_e32 vcc, s5, v0
	s_and_saveexec_b64 s[2:3], vcc
	s_cbranch_execz .LBB7_6
; %bb.1:
	s_load_dwordx2 s[2:3], s[0:1], 0x18
	s_waitcnt lgkmcnt(0)
	s_lshr_b32 s5, s3, 9
	s_and_b32 s5, s5, 0x7ffffe
	s_add_i32 s6, s5, -1
	s_sub_i32 s5, 0, s5
	v_and_b32_e32 v1, s5, v0
	v_and_b32_e32 v2, s6, v0
	v_lshlrev_b32_e32 v1, 10, v1
	v_lshlrev_b32_e32 v3, 10, v2
	v_min_u32_e32 v2, s4, v1
	v_add_u32_e32 v1, s3, v1
	v_min_u32_e32 v4, s4, v1
	v_add_u32_e32 v1, s3, v4
	v_min_u32_e32 v1, s4, v1
	v_sub_u32_e32 v5, v1, v2
	v_min_u32_e32 v10, v5, v3
	v_sub_u32_e32 v3, v4, v2
	v_sub_u32_e32 v1, v1, v4
	v_sub_u32_e64 v1, v10, v1 clamp
	v_min_u32_e32 v11, v10, v3
	v_cmp_lt_u32_e32 vcc, v1, v11
	s_and_saveexec_b64 s[4:5], vcc
	s_cbranch_execz .LBB7_5
; %bb.2:
	s_load_dwordx2 s[6:7], s[0:1], 0x0
	v_mov_b32_e32 v5, 0
	v_mov_b32_e32 v3, v5
	s_waitcnt lgkmcnt(0)
	v_lshl_add_u64 v[6:7], v[2:3], 2, s[6:7]
	v_lshl_add_u64 v[8:9], v[4:5], 2, s[6:7]
	s_mov_b64 s[6:7], 0
.LBB7_3:                                ; =>This Inner Loop Header: Depth=1
	v_add_u32_e32 v3, v11, v1
	v_lshrrev_b32_e32 v4, 1, v3
	v_mov_b32_e32 v13, v5
	v_xad_u32 v12, v4, -1, v10
	v_lshl_add_u64 v[14:15], v[4:5], 2, v[6:7]
	v_lshl_add_u64 v[12:13], v[12:13], 2, v[8:9]
	global_load_dword v3, v[14:15], off
	global_load_dword v16, v[12:13], off
	v_add_u32_e32 v12, 1, v4
	s_waitcnt vmcnt(1)
	v_and_b32_e32 v3, s2, v3
	s_waitcnt vmcnt(0)
	v_and_b32_e32 v13, s2, v16
	v_cmp_gt_i32_e32 vcc, v13, v3
	s_nop 1
	v_cndmask_b32_e32 v11, v11, v4, vcc
	v_cndmask_b32_e32 v1, v12, v1, vcc
	v_cmp_ge_u32_e32 vcc, v1, v11
	s_or_b64 s[6:7], vcc, s[6:7]
	s_andn2_b64 exec, exec, s[6:7]
	s_cbranch_execnz .LBB7_3
; %bb.4:
	s_or_b64 exec, exec, s[6:7]
.LBB7_5:
	s_or_b64 exec, exec, s[4:5]
	s_load_dwordx2 s[0:1], s[0:1], 0x10
	v_add_u32_e32 v2, v1, v2
	v_mov_b32_e32 v1, 0
	s_waitcnt lgkmcnt(0)
	v_lshl_add_u64 v[0:1], v[0:1], 2, s[0:1]
	global_store_dword v[0:1], v2, off
.LBB7_6:
	s_endpgm
	.section	.rodata,"a",@progbits
	.p2align	6, 0x0
	.amdhsa_kernel _ZN7rocprim17ROCPRIM_304000_NS6detail45device_block_merge_mergepath_partition_kernelINS1_37wrapped_merge_sort_block_merge_configINS0_14default_configEiN2at4cuda3cub6detail10OpaqueTypeILi1EEEEEPijNS1_19radix_merge_compareILb1ELb1EiNS0_19identity_decomposerEEEEEvT0_T1_jPSH_T2_SH_
		.amdhsa_group_segment_fixed_size 0
		.amdhsa_private_segment_fixed_size 0
		.amdhsa_kernarg_size 32
		.amdhsa_user_sgpr_count 2
		.amdhsa_user_sgpr_dispatch_ptr 0
		.amdhsa_user_sgpr_queue_ptr 0
		.amdhsa_user_sgpr_kernarg_segment_ptr 1
		.amdhsa_user_sgpr_dispatch_id 0
		.amdhsa_user_sgpr_kernarg_preload_length 0
		.amdhsa_user_sgpr_kernarg_preload_offset 0
		.amdhsa_user_sgpr_private_segment_size 0
		.amdhsa_uses_dynamic_stack 0
		.amdhsa_enable_private_segment 0
		.amdhsa_system_sgpr_workgroup_id_x 1
		.amdhsa_system_sgpr_workgroup_id_y 0
		.amdhsa_system_sgpr_workgroup_id_z 0
		.amdhsa_system_sgpr_workgroup_info 0
		.amdhsa_system_vgpr_workitem_id 0
		.amdhsa_next_free_vgpr 17
		.amdhsa_next_free_sgpr 8
		.amdhsa_accum_offset 20
		.amdhsa_reserve_vcc 1
		.amdhsa_float_round_mode_32 0
		.amdhsa_float_round_mode_16_64 0
		.amdhsa_float_denorm_mode_32 3
		.amdhsa_float_denorm_mode_16_64 3
		.amdhsa_dx10_clamp 1
		.amdhsa_ieee_mode 1
		.amdhsa_fp16_overflow 0
		.amdhsa_tg_split 0
		.amdhsa_exception_fp_ieee_invalid_op 0
		.amdhsa_exception_fp_denorm_src 0
		.amdhsa_exception_fp_ieee_div_zero 0
		.amdhsa_exception_fp_ieee_overflow 0
		.amdhsa_exception_fp_ieee_underflow 0
		.amdhsa_exception_fp_ieee_inexact 0
		.amdhsa_exception_int_div_zero 0
	.end_amdhsa_kernel
	.section	.text._ZN7rocprim17ROCPRIM_304000_NS6detail45device_block_merge_mergepath_partition_kernelINS1_37wrapped_merge_sort_block_merge_configINS0_14default_configEiN2at4cuda3cub6detail10OpaqueTypeILi1EEEEEPijNS1_19radix_merge_compareILb1ELb1EiNS0_19identity_decomposerEEEEEvT0_T1_jPSH_T2_SH_,"axG",@progbits,_ZN7rocprim17ROCPRIM_304000_NS6detail45device_block_merge_mergepath_partition_kernelINS1_37wrapped_merge_sort_block_merge_configINS0_14default_configEiN2at4cuda3cub6detail10OpaqueTypeILi1EEEEEPijNS1_19radix_merge_compareILb1ELb1EiNS0_19identity_decomposerEEEEEvT0_T1_jPSH_T2_SH_,comdat
.Lfunc_end7:
	.size	_ZN7rocprim17ROCPRIM_304000_NS6detail45device_block_merge_mergepath_partition_kernelINS1_37wrapped_merge_sort_block_merge_configINS0_14default_configEiN2at4cuda3cub6detail10OpaqueTypeILi1EEEEEPijNS1_19radix_merge_compareILb1ELb1EiNS0_19identity_decomposerEEEEEvT0_T1_jPSH_T2_SH_, .Lfunc_end7-_ZN7rocprim17ROCPRIM_304000_NS6detail45device_block_merge_mergepath_partition_kernelINS1_37wrapped_merge_sort_block_merge_configINS0_14default_configEiN2at4cuda3cub6detail10OpaqueTypeILi1EEEEEPijNS1_19radix_merge_compareILb1ELb1EiNS0_19identity_decomposerEEEEEvT0_T1_jPSH_T2_SH_
                                        ; -- End function
	.set _ZN7rocprim17ROCPRIM_304000_NS6detail45device_block_merge_mergepath_partition_kernelINS1_37wrapped_merge_sort_block_merge_configINS0_14default_configEiN2at4cuda3cub6detail10OpaqueTypeILi1EEEEEPijNS1_19radix_merge_compareILb1ELb1EiNS0_19identity_decomposerEEEEEvT0_T1_jPSH_T2_SH_.num_vgpr, 17
	.set _ZN7rocprim17ROCPRIM_304000_NS6detail45device_block_merge_mergepath_partition_kernelINS1_37wrapped_merge_sort_block_merge_configINS0_14default_configEiN2at4cuda3cub6detail10OpaqueTypeILi1EEEEEPijNS1_19radix_merge_compareILb1ELb1EiNS0_19identity_decomposerEEEEEvT0_T1_jPSH_T2_SH_.num_agpr, 0
	.set _ZN7rocprim17ROCPRIM_304000_NS6detail45device_block_merge_mergepath_partition_kernelINS1_37wrapped_merge_sort_block_merge_configINS0_14default_configEiN2at4cuda3cub6detail10OpaqueTypeILi1EEEEEPijNS1_19radix_merge_compareILb1ELb1EiNS0_19identity_decomposerEEEEEvT0_T1_jPSH_T2_SH_.numbered_sgpr, 8
	.set _ZN7rocprim17ROCPRIM_304000_NS6detail45device_block_merge_mergepath_partition_kernelINS1_37wrapped_merge_sort_block_merge_configINS0_14default_configEiN2at4cuda3cub6detail10OpaqueTypeILi1EEEEEPijNS1_19radix_merge_compareILb1ELb1EiNS0_19identity_decomposerEEEEEvT0_T1_jPSH_T2_SH_.num_named_barrier, 0
	.set _ZN7rocprim17ROCPRIM_304000_NS6detail45device_block_merge_mergepath_partition_kernelINS1_37wrapped_merge_sort_block_merge_configINS0_14default_configEiN2at4cuda3cub6detail10OpaqueTypeILi1EEEEEPijNS1_19radix_merge_compareILb1ELb1EiNS0_19identity_decomposerEEEEEvT0_T1_jPSH_T2_SH_.private_seg_size, 0
	.set _ZN7rocprim17ROCPRIM_304000_NS6detail45device_block_merge_mergepath_partition_kernelINS1_37wrapped_merge_sort_block_merge_configINS0_14default_configEiN2at4cuda3cub6detail10OpaqueTypeILi1EEEEEPijNS1_19radix_merge_compareILb1ELb1EiNS0_19identity_decomposerEEEEEvT0_T1_jPSH_T2_SH_.uses_vcc, 1
	.set _ZN7rocprim17ROCPRIM_304000_NS6detail45device_block_merge_mergepath_partition_kernelINS1_37wrapped_merge_sort_block_merge_configINS0_14default_configEiN2at4cuda3cub6detail10OpaqueTypeILi1EEEEEPijNS1_19radix_merge_compareILb1ELb1EiNS0_19identity_decomposerEEEEEvT0_T1_jPSH_T2_SH_.uses_flat_scratch, 0
	.set _ZN7rocprim17ROCPRIM_304000_NS6detail45device_block_merge_mergepath_partition_kernelINS1_37wrapped_merge_sort_block_merge_configINS0_14default_configEiN2at4cuda3cub6detail10OpaqueTypeILi1EEEEEPijNS1_19radix_merge_compareILb1ELb1EiNS0_19identity_decomposerEEEEEvT0_T1_jPSH_T2_SH_.has_dyn_sized_stack, 0
	.set _ZN7rocprim17ROCPRIM_304000_NS6detail45device_block_merge_mergepath_partition_kernelINS1_37wrapped_merge_sort_block_merge_configINS0_14default_configEiN2at4cuda3cub6detail10OpaqueTypeILi1EEEEEPijNS1_19radix_merge_compareILb1ELb1EiNS0_19identity_decomposerEEEEEvT0_T1_jPSH_T2_SH_.has_recursion, 0
	.set _ZN7rocprim17ROCPRIM_304000_NS6detail45device_block_merge_mergepath_partition_kernelINS1_37wrapped_merge_sort_block_merge_configINS0_14default_configEiN2at4cuda3cub6detail10OpaqueTypeILi1EEEEEPijNS1_19radix_merge_compareILb1ELb1EiNS0_19identity_decomposerEEEEEvT0_T1_jPSH_T2_SH_.has_indirect_call, 0
	.section	.AMDGPU.csdata,"",@progbits
; Kernel info:
; codeLenInByte = 332
; TotalNumSgprs: 14
; NumVgprs: 17
; NumAgprs: 0
; TotalNumVgprs: 17
; ScratchSize: 0
; MemoryBound: 0
; FloatMode: 240
; IeeeMode: 1
; LDSByteSize: 0 bytes/workgroup (compile time only)
; SGPRBlocks: 1
; VGPRBlocks: 2
; NumSGPRsForWavesPerEU: 14
; NumVGPRsForWavesPerEU: 17
; AccumOffset: 20
; Occupancy: 8
; WaveLimiterHint : 0
; COMPUTE_PGM_RSRC2:SCRATCH_EN: 0
; COMPUTE_PGM_RSRC2:USER_SGPR: 2
; COMPUTE_PGM_RSRC2:TRAP_HANDLER: 0
; COMPUTE_PGM_RSRC2:TGID_X_EN: 1
; COMPUTE_PGM_RSRC2:TGID_Y_EN: 0
; COMPUTE_PGM_RSRC2:TGID_Z_EN: 0
; COMPUTE_PGM_RSRC2:TIDIG_COMP_CNT: 0
; COMPUTE_PGM_RSRC3_GFX90A:ACCUM_OFFSET: 4
; COMPUTE_PGM_RSRC3_GFX90A:TG_SPLIT: 0
	.section	.text._ZN7rocprim17ROCPRIM_304000_NS6detail35device_block_merge_mergepath_kernelINS1_37wrapped_merge_sort_block_merge_configINS0_14default_configEiN2at4cuda3cub6detail10OpaqueTypeILi1EEEEEPiSC_PSA_SD_jNS1_19radix_merge_compareILb1ELb1EiNS0_19identity_decomposerEEEEEvT0_T1_T2_T3_T4_SL_jT5_PKSL_NS1_7vsmem_tE,"axG",@progbits,_ZN7rocprim17ROCPRIM_304000_NS6detail35device_block_merge_mergepath_kernelINS1_37wrapped_merge_sort_block_merge_configINS0_14default_configEiN2at4cuda3cub6detail10OpaqueTypeILi1EEEEEPiSC_PSA_SD_jNS1_19radix_merge_compareILb1ELb1EiNS0_19identity_decomposerEEEEEvT0_T1_T2_T3_T4_SL_jT5_PKSL_NS1_7vsmem_tE,comdat
	.protected	_ZN7rocprim17ROCPRIM_304000_NS6detail35device_block_merge_mergepath_kernelINS1_37wrapped_merge_sort_block_merge_configINS0_14default_configEiN2at4cuda3cub6detail10OpaqueTypeILi1EEEEEPiSC_PSA_SD_jNS1_19radix_merge_compareILb1ELb1EiNS0_19identity_decomposerEEEEEvT0_T1_T2_T3_T4_SL_jT5_PKSL_NS1_7vsmem_tE ; -- Begin function _ZN7rocprim17ROCPRIM_304000_NS6detail35device_block_merge_mergepath_kernelINS1_37wrapped_merge_sort_block_merge_configINS0_14default_configEiN2at4cuda3cub6detail10OpaqueTypeILi1EEEEEPiSC_PSA_SD_jNS1_19radix_merge_compareILb1ELb1EiNS0_19identity_decomposerEEEEEvT0_T1_T2_T3_T4_SL_jT5_PKSL_NS1_7vsmem_tE
	.globl	_ZN7rocprim17ROCPRIM_304000_NS6detail35device_block_merge_mergepath_kernelINS1_37wrapped_merge_sort_block_merge_configINS0_14default_configEiN2at4cuda3cub6detail10OpaqueTypeILi1EEEEEPiSC_PSA_SD_jNS1_19radix_merge_compareILb1ELb1EiNS0_19identity_decomposerEEEEEvT0_T1_T2_T3_T4_SL_jT5_PKSL_NS1_7vsmem_tE
	.p2align	8
	.type	_ZN7rocprim17ROCPRIM_304000_NS6detail35device_block_merge_mergepath_kernelINS1_37wrapped_merge_sort_block_merge_configINS0_14default_configEiN2at4cuda3cub6detail10OpaqueTypeILi1EEEEEPiSC_PSA_SD_jNS1_19radix_merge_compareILb1ELb1EiNS0_19identity_decomposerEEEEEvT0_T1_T2_T3_T4_SL_jT5_PKSL_NS1_7vsmem_tE,@function
_ZN7rocprim17ROCPRIM_304000_NS6detail35device_block_merge_mergepath_kernelINS1_37wrapped_merge_sort_block_merge_configINS0_14default_configEiN2at4cuda3cub6detail10OpaqueTypeILi1EEEEEPiSC_PSA_SD_jNS1_19radix_merge_compareILb1ELb1EiNS0_19identity_decomposerEEEEEvT0_T1_T2_T3_T4_SL_jT5_PKSL_NS1_7vsmem_tE: ; @_ZN7rocprim17ROCPRIM_304000_NS6detail35device_block_merge_mergepath_kernelINS1_37wrapped_merge_sort_block_merge_configINS0_14default_configEiN2at4cuda3cub6detail10OpaqueTypeILi1EEEEEPiSC_PSA_SD_jNS1_19radix_merge_compareILb1ELb1EiNS0_19identity_decomposerEEEEEvT0_T1_T2_T3_T4_SL_jT5_PKSL_NS1_7vsmem_tE
; %bb.0:
	s_load_dwordx2 s[10:11], s[0:1], 0x40
	s_load_dwordx4 s[20:23], s[0:1], 0x20
	s_add_u32 s8, s0, 64
	s_addc_u32 s9, s1, 0
	s_waitcnt lgkmcnt(0)
	s_mul_i32 s4, s11, s4
	s_add_i32 s3, s4, s3
	s_mul_i32 s3, s3, s10
	s_add_i32 s6, s3, s2
	s_cmp_ge_u32 s6, s22
	s_cbranch_scc1 .LBB8_105
; %bb.1:
	s_load_dwordx8 s[12:19], s[0:1], 0x0
	s_load_dwordx2 s[4:5], s[0:1], 0x30
	s_lshr_b32 s11, s20, 10
	s_cmp_lg_u32 s6, s11
	s_mov_b32 s7, 0
	s_cselect_b64 s[24:25], -1, 0
	s_lshl_b64 s[0:1], s[6:7], 2
	s_waitcnt lgkmcnt(0)
	s_add_u32 s0, s4, s0
	s_addc_u32 s1, s5, s1
	s_load_dwordx2 s[26:27], s[0:1], 0x0
	s_lshr_b32 s0, s21, 9
	s_and_b32 s0, s0, 0x7ffffe
	s_sub_i32 s0, 0, s0
	s_and_b32 s1, s6, s0
	s_lshl_b32 s3, s1, 10
	s_lshl_b32 s22, s6, 10
	;; [unrolled: 1-line block ×3, first 2 shown]
	s_sub_i32 s4, s22, s3
	s_add_i32 s1, s1, s21
	s_add_i32 s4, s1, s4
	s_waitcnt lgkmcnt(0)
	s_sub_i32 s5, s4, s26
	s_sub_i32 s4, s4, s27
	;; [unrolled: 1-line block ×3, first 2 shown]
	s_min_u32 s28, s20, s5
	s_addk_i32 s4, 0x400
	s_or_b32 s0, s6, s0
	s_min_u32 s3, s20, s1
	s_add_i32 s1, s1, s21
	s_cmp_eq_u32 s0, -1
	s_cselect_b32 s0, s1, s4
	s_cselect_b32 s1, s3, s27
	s_min_u32 s0, s0, s20
	s_mov_b32 s27, s7
	s_sub_i32 s33, s1, s26
	s_sub_i32 s34, s0, s28
	s_lshl_b64 s[0:1], s[26:27], 2
	s_add_u32 s0, s12, s0
	s_mov_b32 s29, s7
	s_addc_u32 s1, s13, s1
	s_lshl_b64 s[4:5], s[28:29], 2
	s_add_u32 s4, s12, s4
	s_addc_u32 s5, s13, s5
	s_cmp_lt_u32 s2, s10
	v_mov_b32_e32 v11, 0
	s_cselect_b32 s2, 12, 18
	global_load_dword v1, v11, s[8:9] offset:14
	s_add_u32 s2, s8, s2
	s_addc_u32 s3, s9, 0
	global_load_ushort v2, v11, s[2:3]
	v_cmp_gt_u32_e32 vcc, s33, v0
	s_cmp_eq_u32 s6, s11
	v_lshlrev_b32_e32 v10, 2, v0
	s_waitcnt vmcnt(1)
	v_lshrrev_b32_e32 v3, 16, v1
	v_and_b32_e32 v1, 0xffff, v1
	v_mul_lo_u32 v1, v1, v3
	s_waitcnt vmcnt(0)
	v_mul_lo_u32 v1, v1, v2
	v_add_u32_e32 v12, v1, v0
	s_cbranch_scc1 .LBB8_3
; %bb.2:
	v_subrev_u32_e32 v4, s33, v0
	v_lshlrev_b32_e32 v4, 2, v4
	v_mov_b32_e32 v5, v11
	v_lshl_add_u64 v[2:3], s[0:1], 0, v[10:11]
	v_lshl_add_u64 v[4:5], s[4:5], 0, v[4:5]
	v_cndmask_b32_e32 v3, v5, v3, vcc
	v_cndmask_b32_e32 v2, v4, v2, vcc
	v_mov_b32_e32 v13, v11
	v_subrev_co_u32_e32 v6, vcc, s33, v12
	v_mov_b32_e32 v7, v11
	v_lshl_add_u64 v[4:5], v[12:13], 2, s[0:1]
	v_lshl_add_u64 v[6:7], v[6:7], 2, s[4:5]
	v_cndmask_b32_e32 v4, v6, v4, vcc
	v_add_u32_e32 v6, v12, v1
	v_cndmask_b32_e32 v5, v7, v5, vcc
	v_mov_b32_e32 v7, v11
	v_subrev_co_u32_e32 v8, vcc, s33, v6
	v_mov_b32_e32 v9, v11
	global_load_dword v2, v[2:3], off
	v_lshl_add_u64 v[8:9], v[8:9], 2, s[4:5]
	global_load_dword v3, v[4:5], off
	v_lshl_add_u64 v[4:5], v[6:7], 2, s[0:1]
	v_add_u32_e32 v6, v6, v1
	v_cndmask_b32_e32 v5, v9, v5, vcc
	v_cndmask_b32_e32 v4, v8, v4, vcc
	v_subrev_co_u32_e32 v14, vcc, s33, v6
	v_mov_b32_e32 v15, v11
	v_lshl_add_u64 v[8:9], v[6:7], 2, s[0:1]
	v_lshl_add_u64 v[14:15], v[14:15], 2, s[4:5]
	v_cndmask_b32_e32 v9, v15, v9, vcc
	v_cndmask_b32_e32 v8, v14, v8, vcc
	global_load_dword v4, v[4:5], off
	v_mov_b32_e32 v15, v11
	global_load_dword v5, v[8:9], off
	v_add_u32_e32 v8, v6, v1
	v_mov_b32_e32 v9, v11
	v_subrev_co_u32_e32 v14, vcc, s33, v8
	v_lshl_add_u64 v[6:7], v[8:9], 2, s[0:1]
	v_lshl_add_u64 v[14:15], v[14:15], 2, s[4:5]
	v_add_u32_e32 v8, v8, v1
	v_cndmask_b32_e32 v7, v15, v7, vcc
	v_cndmask_b32_e32 v6, v14, v6, vcc
	v_subrev_co_u32_e32 v16, vcc, s33, v8
	v_mov_b32_e32 v17, v11
	v_lshl_add_u64 v[14:15], v[8:9], 2, s[0:1]
	v_lshl_add_u64 v[16:17], v[16:17], 2, s[4:5]
	v_cndmask_b32_e32 v15, v17, v15, vcc
	v_cndmask_b32_e32 v14, v16, v14, vcc
	global_load_dword v6, v[6:7], off
	v_mov_b32_e32 v17, v11
	global_load_dword v7, v[14:15], off
	v_add_u32_e32 v14, v8, v1
	v_mov_b32_e32 v15, v11
	v_subrev_co_u32_e32 v16, vcc, s33, v14
	v_lshl_add_u64 v[8:9], v[14:15], 2, s[0:1]
	v_lshl_add_u64 v[16:17], v[16:17], 2, s[4:5]
	v_add_u32_e32 v14, v14, v1
	v_cndmask_b32_e32 v9, v17, v9, vcc
	v_cndmask_b32_e32 v8, v16, v8, vcc
	v_lshl_add_u64 v[16:17], v[14:15], 2, s[0:1]
	v_subrev_co_u32_e32 v14, vcc, s33, v14
	v_lshl_add_u64 v[14:15], v[14:15], 2, s[4:5]
	s_nop 0
	v_cndmask_b32_e32 v15, v15, v17, vcc
	v_cndmask_b32_e32 v14, v14, v16, vcc
	global_load_dword v8, v[8:9], off
	s_add_i32 s21, s34, s33
	global_load_dword v9, v[14:15], off
	s_cbranch_execz .LBB8_4
	s_branch .LBB8_21
.LBB8_3:
                                        ; implicit-def: $vgpr2_vgpr3_vgpr4_vgpr5_vgpr6_vgpr7_vgpr8_vgpr9
                                        ; implicit-def: $sgpr21
.LBB8_4:
	s_add_i32 s21, s34, s33
	s_waitcnt vmcnt(7)
	v_mov_b32_e32 v2, 0
	v_cmp_gt_u32_e32 vcc, s21, v0
	s_waitcnt vmcnt(6)
	v_mov_b32_e32 v3, v2
	s_waitcnt vmcnt(5)
	v_mov_b32_e32 v4, v2
	s_waitcnt vmcnt(4)
	v_mov_b32_e32 v5, v2
	s_waitcnt vmcnt(3)
	v_mov_b32_e32 v6, v2
	s_waitcnt vmcnt(2)
	v_mov_b32_e32 v7, v2
	s_waitcnt vmcnt(1)
	v_mov_b32_e32 v8, v2
	s_waitcnt vmcnt(0)
	v_mov_b32_e32 v9, v2
	s_and_saveexec_b64 s[2:3], vcc
	s_cbranch_execz .LBB8_6
; %bb.5:
	v_subrev_u32_e32 v3, s33, v0
	v_mov_b32_e32 v11, v2
	v_lshlrev_b32_e32 v6, 2, v3
	v_mov_b32_e32 v7, v2
	v_lshl_add_u64 v[4:5], s[0:1], 0, v[10:11]
	v_lshl_add_u64 v[6:7], s[4:5], 0, v[6:7]
	v_cmp_gt_u32_e32 vcc, s33, v0
	v_mov_b32_e32 v15, v2
	v_mov_b32_e32 v16, v2
	v_cndmask_b32_e32 v5, v7, v5, vcc
	v_cndmask_b32_e32 v4, v6, v4, vcc
	global_load_dword v14, v[4:5], off
	v_mov_b32_e32 v17, v2
	v_mov_b32_e32 v18, v2
	;; [unrolled: 1-line block ×5, first 2 shown]
	s_waitcnt vmcnt(0)
	v_mov_b64_e32 v[2:3], v[14:15]
	v_mov_b64_e32 v[4:5], v[16:17]
	;; [unrolled: 1-line block ×4, first 2 shown]
.LBB8_6:
	s_or_b64 exec, exec, s[2:3]
	v_cmp_gt_u32_e32 vcc, s21, v12
	s_and_saveexec_b64 s[2:3], vcc
	s_cbranch_execz .LBB8_8
; %bb.7:
	v_mov_b32_e32 v13, 0
	v_subrev_co_u32_e32 v16, vcc, s33, v12
	v_mov_b32_e32 v17, v13
	v_lshl_add_u64 v[14:15], v[12:13], 2, s[0:1]
	v_lshl_add_u64 v[16:17], v[16:17], 2, s[4:5]
	v_cndmask_b32_e32 v15, v17, v15, vcc
	v_cndmask_b32_e32 v14, v16, v14, vcc
	global_load_dword v3, v[14:15], off
.LBB8_8:
	s_or_b64 exec, exec, s[2:3]
	v_add_u32_e32 v12, v12, v1
	v_cmp_gt_u32_e32 vcc, s21, v12
	s_and_saveexec_b64 s[2:3], vcc
	s_cbranch_execz .LBB8_10
; %bb.9:
	v_mov_b32_e32 v13, 0
	v_subrev_co_u32_e32 v16, vcc, s33, v12
	v_mov_b32_e32 v17, v13
	v_lshl_add_u64 v[14:15], v[12:13], 2, s[0:1]
	v_lshl_add_u64 v[16:17], v[16:17], 2, s[4:5]
	v_cndmask_b32_e32 v15, v17, v15, vcc
	v_cndmask_b32_e32 v14, v16, v14, vcc
	global_load_dword v4, v[14:15], off
.LBB8_10:
	s_or_b64 exec, exec, s[2:3]
	v_add_u32_e32 v12, v12, v1
	;; [unrolled: 15-line block ×6, first 2 shown]
	v_cmp_gt_u32_e32 vcc, s21, v12
	s_and_saveexec_b64 s[2:3], vcc
	s_cbranch_execz .LBB8_20
; %bb.19:
	v_mov_b32_e32 v13, 0
	v_lshl_add_u64 v[14:15], v[12:13], 2, s[0:1]
	v_subrev_co_u32_e32 v12, vcc, s33, v12
	v_lshl_add_u64 v[12:13], v[12:13], 2, s[4:5]
	s_nop 0
	v_cndmask_b32_e32 v13, v13, v15, vcc
	v_cndmask_b32_e32 v12, v12, v14, vcc
	global_load_dword v9, v[12:13], off
.LBB8_20:
	s_or_b64 exec, exec, s[2:3]
.LBB8_21:
	v_lshlrev_b32_e32 v11, 3, v0
	v_min_u32_e32 v1, s21, v11
	v_sub_u32_e64 v12, v1, s34 clamp
	v_min_u32_e32 v13, s33, v1
	v_cmp_lt_u32_e32 vcc, v12, v13
	s_waitcnt vmcnt(0)
	ds_write2st64_b32 v10, v2, v3 offset1:2
	ds_write2st64_b32 v10, v4, v5 offset0:4 offset1:6
	ds_write2st64_b32 v10, v6, v7 offset0:8 offset1:10
	;; [unrolled: 1-line block ×3, first 2 shown]
	s_waitcnt lgkmcnt(0)
	s_barrier
	s_and_saveexec_b64 s[0:1], vcc
	s_cbranch_execz .LBB8_25
; %bb.22:
	v_lshlrev_b32_e32 v14, 2, v1
	v_lshl_add_u32 v14, s33, 2, v14
	s_mov_b64 s[2:3], 0
.LBB8_23:                               ; =>This Inner Loop Header: Depth=1
	v_add_u32_e32 v15, v13, v12
	v_lshrrev_b32_e32 v15, 1, v15
	v_not_b32_e32 v16, v15
	v_lshlrev_b32_e32 v17, 2, v15
	v_lshl_add_u32 v16, v16, 2, v14
	ds_read_b32 v17, v17
	ds_read_b32 v16, v16
	v_add_u32_e32 v18, 1, v15
	s_waitcnt lgkmcnt(1)
	v_and_b32_e32 v17, s23, v17
	s_waitcnt lgkmcnt(0)
	v_and_b32_e32 v16, s23, v16
	v_cmp_gt_i32_e32 vcc, v16, v17
	s_nop 1
	v_cndmask_b32_e32 v13, v13, v15, vcc
	v_cndmask_b32_e32 v12, v18, v12, vcc
	v_cmp_ge_u32_e32 vcc, v12, v13
	s_or_b64 s[2:3], vcc, s[2:3]
	s_andn2_b64 exec, exec, s[2:3]
	s_cbranch_execnz .LBB8_23
; %bb.24:
	s_or_b64 exec, exec, s[2:3]
.LBB8_25:
	s_or_b64 exec, exec, s[0:1]
	v_sub_u32_e32 v1, v1, v12
	v_add_u32_e32 v13, s33, v1
	v_cmp_ge_u32_e32 vcc, s33, v12
	v_cmp_ge_u32_e64 s[0:1], s21, v13
	s_or_b64 s[0:1], vcc, s[0:1]
	v_mov_b32_e32 v20, 0
	v_mov_b32_e32 v23, 0
	;; [unrolled: 1-line block ×8, first 2 shown]
	s_and_saveexec_b64 s[30:31], s[0:1]
	s_cbranch_execz .LBB8_31
; %bb.26:
	v_cmp_gt_u32_e32 vcc, s33, v12
                                        ; implicit-def: $vgpr1
	s_and_saveexec_b64 s[0:1], vcc
; %bb.27:
	v_lshlrev_b32_e32 v1, 2, v12
	ds_read_b32 v1, v1
; %bb.28:
	s_or_b64 exec, exec, s[0:1]
	v_cmp_le_u32_e64 s[0:1], s21, v13
	v_cmp_gt_u32_e64 s[2:3], s21, v13
                                        ; implicit-def: $vgpr2
	s_and_saveexec_b64 s[4:5], s[2:3]
; %bb.29:
	v_lshlrev_b32_e32 v2, 2, v13
	ds_read_b32 v2, v2
; %bb.30:
	s_or_b64 exec, exec, s[4:5]
	s_waitcnt lgkmcnt(0)
	v_and_b32_e32 v3, s23, v2
	v_and_b32_e32 v4, s23, v1
	v_cmp_le_i32_e64 s[2:3], v3, v4
	s_and_b64 s[2:3], vcc, s[2:3]
	s_or_b64 vcc, s[0:1], s[2:3]
	v_mov_b32_e32 v5, s21
	v_mov_b32_e32 v6, s33
	v_cndmask_b32_e32 v16, v13, v12, vcc
	v_cndmask_b32_e32 v3, v5, v6, vcc
	v_add_u32_e32 v4, 1, v16
	v_add_u32_e32 v3, -1, v3
	v_min_u32_e32 v3, v4, v3
	v_lshlrev_b32_e32 v3, 2, v3
	ds_read_b32 v3, v3
	v_cndmask_b32_e32 v8, v4, v13, vcc
	v_cndmask_b32_e32 v4, v12, v4, vcc
	v_cmp_gt_u32_e64 s[2:3], s33, v4
	v_cmp_le_u32_e64 s[0:1], s21, v8
	s_waitcnt lgkmcnt(0)
	v_cndmask_b32_e32 v7, v3, v2, vcc
	v_cndmask_b32_e32 v3, v1, v3, vcc
	v_and_b32_e32 v9, s23, v7
	v_and_b32_e32 v12, s23, v3
	v_cmp_le_i32_e64 s[4:5], v9, v12
	s_and_b64 s[2:3], s[2:3], s[4:5]
	s_or_b64 s[0:1], s[0:1], s[2:3]
	v_cndmask_b32_e64 v17, v8, v4, s[0:1]
	v_cndmask_b32_e64 v9, v5, v6, s[0:1]
	v_add_u32_e32 v12, 1, v17
	v_add_u32_e32 v9, -1, v9
	v_min_u32_e32 v9, v12, v9
	v_lshlrev_b32_e32 v9, 2, v9
	ds_read_b32 v9, v9
	v_cndmask_b32_e64 v8, v12, v8, s[0:1]
	v_cndmask_b32_e64 v4, v4, v12, s[0:1]
	v_cmp_gt_u32_e64 s[4:5], s33, v4
	v_cmp_le_u32_e64 s[2:3], s21, v8
	s_waitcnt lgkmcnt(0)
	v_cndmask_b32_e64 v13, v9, v7, s[0:1]
	v_cndmask_b32_e64 v9, v3, v9, s[0:1]
	v_and_b32_e32 v12, s23, v13
	v_and_b32_e32 v14, s23, v9
	v_cmp_le_i32_e64 s[6:7], v12, v14
	s_and_b64 s[4:5], s[4:5], s[6:7]
	s_or_b64 s[2:3], s[2:3], s[4:5]
	v_cndmask_b32_e64 v18, v8, v4, s[2:3]
	v_cndmask_b32_e64 v12, v5, v6, s[2:3]
	v_add_u32_e32 v14, 1, v18
	v_add_u32_e32 v12, -1, v12
	v_min_u32_e32 v12, v14, v12
	v_lshlrev_b32_e32 v12, 2, v12
	ds_read_b32 v12, v12
	v_cndmask_b32_e64 v8, v14, v8, s[2:3]
	v_cndmask_b32_e64 v4, v4, v14, s[2:3]
	v_cmp_gt_u32_e64 s[6:7], s33, v4
	v_cmp_le_u32_e64 s[4:5], s21, v8
	s_waitcnt lgkmcnt(0)
	v_cndmask_b32_e64 v15, v12, v13, s[2:3]
	v_cndmask_b32_e64 v12, v9, v12, s[2:3]
	;; [unrolled: 19-line block ×4, first 2 shown]
	v_and_b32_e32 v4, s23, v25
	v_and_b32_e32 v22, s23, v20
	v_cmp_le_i32_e64 s[12:13], v4, v22
	s_and_b64 s[10:11], s[10:11], s[12:13]
	s_or_b64 s[8:9], s[8:9], s[10:11]
	v_cndmask_b32_e64 v22, v8, v23, s[8:9]
	v_cndmask_b32_e64 v4, v5, v6, s[8:9]
	v_add_u32_e32 v26, 1, v22
	v_add_u32_e32 v4, -1, v4
	v_min_u32_e32 v4, v26, v4
	v_lshlrev_b32_e32 v4, 2, v4
	ds_read_b32 v27, v4
	v_cndmask_b32_e32 v2, v2, v1, vcc
	v_cndmask_b32_e64 v4, v13, v9, s[2:3]
	v_cndmask_b32_e64 v3, v7, v3, s[0:1]
	;; [unrolled: 1-line block ×3, first 2 shown]
	s_waitcnt lgkmcnt(0)
	v_cndmask_b32_e64 v1, v27, v25, s[8:9]
	v_cndmask_b32_e64 v9, v20, v27, s[8:9]
	;; [unrolled: 1-line block ×3, first 2 shown]
	v_and_b32_e32 v7, s23, v1
	v_and_b32_e32 v8, s23, v9
	v_cmp_gt_u32_e64 s[0:1], s33, v26
	v_cmp_le_i32_e64 s[2:3], v7, v8
	v_cmp_le_u32_e32 vcc, s21, v13
	s_and_b64 s[0:1], s[0:1], s[2:3]
	s_or_b64 vcc, vcc, s[0:1]
	v_cndmask_b32_e32 v23, v13, v26, vcc
	v_cndmask_b32_e32 v5, v5, v6, vcc
	v_add_u32_e32 v27, 1, v23
	v_add_u32_e32 v5, -1, v5
	v_min_u32_e32 v5, v27, v5
	v_lshlrev_b32_e32 v5, 2, v5
	ds_read_b32 v28, v5
	v_cndmask_b32_e32 v8, v1, v9, vcc
	v_cndmask_b32_e64 v5, v15, v12, s[4:5]
	v_cndmask_b32_e64 v6, v24, v14, s[6:7]
	v_cndmask_b32_e32 v12, v27, v13, vcc
	s_waitcnt lgkmcnt(0)
	v_cndmask_b32_e32 v1, v28, v1, vcc
	v_cndmask_b32_e32 v9, v9, v28, vcc
	;; [unrolled: 1-line block ×3, first 2 shown]
	v_and_b32_e32 v14, s23, v1
	v_and_b32_e32 v15, s23, v9
	v_cmp_gt_u32_e64 s[0:1], s33, v13
	v_cmp_le_i32_e64 s[2:3], v14, v15
	v_cmp_le_u32_e32 vcc, s21, v12
	s_and_b64 s[0:1], s[0:1], s[2:3]
	s_or_b64 vcc, vcc, s[0:1]
	v_cndmask_b32_e64 v7, v25, v20, s[8:9]
	v_cndmask_b32_e32 v20, v12, v13, vcc
	v_cndmask_b32_e32 v9, v1, v9, vcc
.LBB8_31:
	s_or_b64 exec, exec, s[30:31]
	s_add_u32 s8, s16, s26
	s_addc_u32 s9, s17, 0
	s_add_u32 s6, s16, s28
	v_cndmask_b32_e64 v12, 0, 1, s[24:25]
	v_mov_b32_e32 v1, 0
	s_addc_u32 s7, s17, 0
	v_cmp_gt_u32_e64 s[4:5], s33, v0
	v_cmp_ne_u32_e64 s[0:1], 1, v12
	s_andn2_b64 vcc, exec, s[24:25]
	v_cmp_le_u32_e64 s[2:3], s33, v0
	s_barrier
	s_cbranch_vccnz .LBB8_33
; %bb.32:
	v_subrev_u32_e32 v14, s33, v0
	v_mov_b32_e32 v15, v1
	v_lshl_add_u64 v[12:13], s[8:9], 0, v[0:1]
	v_lshl_add_u64 v[14:15], s[6:7], 0, v[14:15]
	v_cndmask_b32_e64 v13, v15, v13, s[4:5]
	v_cndmask_b32_e64 v12, v14, v12, s[4:5]
	global_load_ubyte v25, v[12:13], off
	v_or_b32_e32 v13, 0x80, v0
	v_subrev_u32_e32 v12, s33, v13
	v_mov_b32_e32 v26, s7
	v_mov_b32_e32 v27, s9
	v_cmp_gt_u32_e32 vcc, s33, v13
	v_mov_b32_e32 v28, s6
	v_mov_b32_e32 v29, s8
	v_min_u32_e32 v12, v13, v12
	v_cndmask_b32_e32 v15, v26, v27, vcc
	v_cndmask_b32_e32 v14, v28, v29, vcc
	v_mov_b32_e32 v13, v1
	v_lshl_add_u64 v[12:13], v[14:15], 0, v[12:13]
	global_load_ubyte v30, v[12:13], off
	v_or_b32_e32 v13, 0x100, v0
	v_subrev_u32_e32 v12, s33, v13
	v_cmp_gt_u32_e32 vcc, s33, v13
	v_min_u32_e32 v12, v13, v12
	v_mov_b32_e32 v13, v1
	v_cndmask_b32_e32 v15, v26, v27, vcc
	v_cndmask_b32_e32 v14, v28, v29, vcc
	v_lshl_add_u64 v[12:13], v[14:15], 0, v[12:13]
	global_load_ubyte v31, v[12:13], off
	v_or_b32_e32 v13, 0x180, v0
	v_subrev_u32_e32 v12, s33, v13
	v_cmp_gt_u32_e32 vcc, s33, v13
	v_min_u32_e32 v12, v13, v12
	v_mov_b32_e32 v13, v1
	v_cndmask_b32_e32 v15, v26, v27, vcc
	v_cndmask_b32_e32 v14, v28, v29, vcc
	;; [unrolled: 9-line block ×5, first 2 shown]
	v_lshl_add_u64 v[12:13], v[14:15], 0, v[12:13]
	global_load_ubyte v15, v[12:13], off
	v_or_b32_e32 v24, 0x380, v0
	v_subrev_u32_e32 v12, s33, v24
	v_cmp_gt_u32_e32 vcc, s33, v24
	v_min_u32_e32 v14, v24, v12
	s_nop 0
	v_cndmask_b32_e32 v13, v26, v27, vcc
	v_cndmask_b32_e32 v12, v28, v29, vcc
	s_mov_b64 s[4:5], -1
	s_waitcnt vmcnt(6)
	ds_write_b8 v0, v25
	s_waitcnt vmcnt(5)
	ds_write_b8 v0, v30 offset:128
	s_waitcnt vmcnt(4)
	ds_write_b8 v0, v31 offset:256
	;; [unrolled: 2-line block ×6, first 2 shown]
	s_cbranch_execz .LBB8_34
	s_branch .LBB8_67
.LBB8_33:
	s_mov_b64 s[4:5], 0
                                        ; implicit-def: $vgpr24
                                        ; implicit-def: $vgpr12_vgpr13
                                        ; implicit-def: $vgpr14
.LBB8_34:
	s_and_saveexec_b64 s[4:5], s[2:3]
	s_xor_b64 s[2:3], exec, s[4:5]
	s_cbranch_execz .LBB8_38
; %bb.35:
	v_subrev_u32_e32 v12, s33, v0
	v_cmp_gt_u32_e32 vcc, s34, v12
	s_and_saveexec_b64 s[4:5], vcc
	s_cbranch_execz .LBB8_37
; %bb.36:
	global_load_ubyte v12, v12, s[6:7]
	s_waitcnt vmcnt(0)
	ds_write_b8 v0, v12
.LBB8_37:
	s_or_b64 exec, exec, s[4:5]
.LBB8_38:
	s_andn2_saveexec_b64 s[2:3], s[2:3]
	s_cbranch_execz .LBB8_40
; %bb.39:
	v_lshl_add_u64 v[12:13], s[8:9], 0, v[0:1]
	global_load_ubyte v1, v[12:13], off
	s_waitcnt vmcnt(0)
	ds_write_b8 v0, v1
.LBB8_40:
	s_or_b64 exec, exec, s[2:3]
	v_or_b32_e32 v12, 0x80, v0
	v_cmp_le_u32_e32 vcc, s33, v12
	s_mov_b64 s[2:3], -1
	v_mov_b64_e32 v[14:15], s[26:27]
	s_and_saveexec_b64 s[4:5], vcc
; %bb.41:
	v_subrev_u32_e32 v12, s33, v12
	v_cmp_gt_u32_e32 vcc, s34, v12
	v_mov_b64_e32 v[14:15], s[28:29]
	s_orn2_b64 s[2:3], vcc, exec
; %bb.42:
	s_or_b64 exec, exec, s[4:5]
	s_and_saveexec_b64 s[4:5], s[2:3]
	s_cbranch_execz .LBB8_44
; %bb.43:
	v_lshl_add_u64 v[14:15], s[16:17], 0, v[14:15]
	v_mov_b32_e32 v13, 0
	v_lshl_add_u64 v[12:13], v[14:15], 0, v[12:13]
	global_load_ubyte v1, v[12:13], off
	s_waitcnt vmcnt(0)
	ds_write_b8 v0, v1 offset:128
.LBB8_44:
	s_or_b64 exec, exec, s[4:5]
	v_or_b32_e32 v12, 0x100, v0
	v_cmp_le_u32_e32 vcc, s33, v12
	s_mov_b64 s[2:3], -1
	v_mov_b64_e32 v[14:15], s[26:27]
	s_and_saveexec_b64 s[4:5], vcc
; %bb.45:
	v_subrev_u32_e32 v12, s33, v12
	v_cmp_gt_u32_e32 vcc, s34, v12
	v_mov_b64_e32 v[14:15], s[28:29]
	s_orn2_b64 s[2:3], vcc, exec
; %bb.46:
	s_or_b64 exec, exec, s[4:5]
	s_and_saveexec_b64 s[4:5], s[2:3]
	s_cbranch_execz .LBB8_48
; %bb.47:
	v_lshl_add_u64 v[14:15], s[16:17], 0, v[14:15]
	v_mov_b32_e32 v13, 0
	v_lshl_add_u64 v[12:13], v[14:15], 0, v[12:13]
	global_load_ubyte v1, v[12:13], off
	s_waitcnt vmcnt(0)
	ds_write_b8 v0, v1 offset:256
.LBB8_48:
	s_or_b64 exec, exec, s[4:5]
	v_or_b32_e32 v12, 0x180, v0
	v_cmp_le_u32_e32 vcc, s33, v12
	s_mov_b64 s[2:3], -1
	v_mov_b64_e32 v[14:15], s[26:27]
	s_and_saveexec_b64 s[4:5], vcc
; %bb.49:
	v_subrev_u32_e32 v12, s33, v12
	v_cmp_gt_u32_e32 vcc, s34, v12
	v_mov_b64_e32 v[14:15], s[28:29]
	s_orn2_b64 s[2:3], vcc, exec
; %bb.50:
	s_or_b64 exec, exec, s[4:5]
	s_and_saveexec_b64 s[4:5], s[2:3]
	s_cbranch_execz .LBB8_52
; %bb.51:
	v_lshl_add_u64 v[14:15], s[16:17], 0, v[14:15]
	v_mov_b32_e32 v13, 0
	v_lshl_add_u64 v[12:13], v[14:15], 0, v[12:13]
	global_load_ubyte v1, v[12:13], off
	s_waitcnt vmcnt(0)
	ds_write_b8 v0, v1 offset:384
.LBB8_52:
	s_or_b64 exec, exec, s[4:5]
	v_or_b32_e32 v12, 0x200, v0
	v_cmp_le_u32_e32 vcc, s33, v12
	s_mov_b64 s[2:3], -1
	v_mov_b64_e32 v[14:15], s[26:27]
	s_and_saveexec_b64 s[4:5], vcc
; %bb.53:
	v_subrev_u32_e32 v12, s33, v12
	v_cmp_gt_u32_e32 vcc, s34, v12
	v_mov_b64_e32 v[14:15], s[28:29]
	s_orn2_b64 s[2:3], vcc, exec
; %bb.54:
	s_or_b64 exec, exec, s[4:5]
	s_and_saveexec_b64 s[4:5], s[2:3]
	s_cbranch_execz .LBB8_56
; %bb.55:
	v_lshl_add_u64 v[14:15], s[16:17], 0, v[14:15]
	v_mov_b32_e32 v13, 0
	v_lshl_add_u64 v[12:13], v[14:15], 0, v[12:13]
	global_load_ubyte v1, v[12:13], off
	s_waitcnt vmcnt(0)
	ds_write_b8 v0, v1 offset:512
.LBB8_56:
	s_or_b64 exec, exec, s[4:5]
	v_or_b32_e32 v12, 0x280, v0
	v_cmp_le_u32_e32 vcc, s33, v12
	s_mov_b64 s[2:3], -1
	v_mov_b64_e32 v[14:15], s[26:27]
	s_and_saveexec_b64 s[4:5], vcc
; %bb.57:
	v_subrev_u32_e32 v12, s33, v12
	v_cmp_gt_u32_e32 vcc, s34, v12
	v_mov_b64_e32 v[14:15], s[28:29]
	s_orn2_b64 s[2:3], vcc, exec
; %bb.58:
	s_or_b64 exec, exec, s[4:5]
	s_and_saveexec_b64 s[4:5], s[2:3]
	s_cbranch_execz .LBB8_60
; %bb.59:
	v_lshl_add_u64 v[14:15], s[16:17], 0, v[14:15]
	v_mov_b32_e32 v13, 0
	v_lshl_add_u64 v[12:13], v[14:15], 0, v[12:13]
	global_load_ubyte v1, v[12:13], off
	s_waitcnt vmcnt(0)
	ds_write_b8 v0, v1 offset:640
.LBB8_60:
	s_or_b64 exec, exec, s[4:5]
	v_or_b32_e32 v12, 0x300, v0
	v_cmp_le_u32_e32 vcc, s33, v12
	s_mov_b64 s[2:3], -1
	v_mov_b64_e32 v[14:15], s[26:27]
	s_and_saveexec_b64 s[4:5], vcc
; %bb.61:
	v_subrev_u32_e32 v12, s33, v12
	v_cmp_gt_u32_e32 vcc, s34, v12
	v_mov_b64_e32 v[14:15], s[28:29]
	s_orn2_b64 s[2:3], vcc, exec
; %bb.62:
	s_or_b64 exec, exec, s[4:5]
	s_and_saveexec_b64 s[4:5], s[2:3]
	s_cbranch_execz .LBB8_64
; %bb.63:
	v_lshl_add_u64 v[14:15], s[16:17], 0, v[14:15]
	v_mov_b32_e32 v13, 0
	v_lshl_add_u64 v[12:13], v[14:15], 0, v[12:13]
	global_load_ubyte v1, v[12:13], off
	s_waitcnt vmcnt(0)
	ds_write_b8 v0, v1 offset:768
.LBB8_64:
	s_or_b64 exec, exec, s[4:5]
	v_or_b32_e32 v24, 0x380, v0
	v_cmp_le_u32_e32 vcc, s33, v24
	s_mov_b64 s[4:5], -1
	v_mov_b64_e32 v[12:13], s[8:9]
	v_mov_b32_e32 v14, v24
	s_and_saveexec_b64 s[2:3], vcc
; %bb.65:
	v_subrev_u32_e32 v14, s33, v24
	v_cmp_gt_u32_e32 vcc, s34, v14
	v_mov_b64_e32 v[12:13], s[6:7]
	s_orn2_b64 s[4:5], vcc, exec
; %bb.66:
	s_or_b64 exec, exec, s[2:3]
.LBB8_67:
	s_and_saveexec_b64 s[2:3], s[4:5]
	s_cbranch_execz .LBB8_69
; %bb.68:
	v_mov_b32_e32 v15, 0
	v_lshl_add_u64 v[12:13], v[12:13], 0, v[14:15]
	global_load_ubyte v1, v[12:13], off
	s_waitcnt vmcnt(0)
	ds_write_b8 v24, v1
.LBB8_69:
	s_or_b64 exec, exec, s[2:3]
	s_and_b64 vcc, exec, s[0:1]
	v_add_u32_e32 v12, s22, v11
	s_waitcnt lgkmcnt(0)
	s_barrier
	s_cbranch_vccnz .LBB8_71
; %bb.70:
	ds_read_u8 v1, v23
	ds_read_u8 v14, v17
	;; [unrolled: 1-line block ×7, first 2 shown]
	s_mov_b32 s0, 0xc0c0004
	s_waitcnt lgkmcnt(4)
	v_perm_b32 v14, v15, v14, s0
	s_waitcnt lgkmcnt(2)
	v_perm_b32 v15, v25, v24, s0
	v_mov_b32_e32 v13, 0
	v_lshl_or_b32 v14, v15, 16, v14
	s_waitcnt lgkmcnt(0)
	v_perm_b32 v15, v27, v26, s0
	s_mov_b64 s[0:1], -1
	global_store_byte v12, v1, s[18:19] offset:6
	global_store_short v12, v15, s[18:19] offset:4
	global_store_dword v12, v14, s[18:19]
	s_cbranch_execz .LBB8_72
	s_branch .LBB8_89
.LBB8_71:
	s_mov_b64 s[0:1], 0
.LBB8_72:
	v_cmp_gt_u32_e32 vcc, s21, v11
	s_and_saveexec_b64 s[2:3], vcc
	s_cbranch_execz .LBB8_74
; %bb.73:
	ds_read_u8 v1, v16
	s_waitcnt lgkmcnt(0)
	global_store_byte v12, v1, s[18:19]
.LBB8_74:
	s_or_b64 exec, exec, s[2:3]
	v_or_b32_e32 v1, 1, v11
	v_cmp_gt_u32_e32 vcc, s21, v1
	s_and_saveexec_b64 s[2:3], vcc
	s_cbranch_execz .LBB8_76
; %bb.75:
	ds_read_u8 v1, v17
	s_waitcnt lgkmcnt(0)
	global_store_byte v12, v1, s[18:19] offset:1
.LBB8_76:
	s_or_b64 exec, exec, s[2:3]
	v_or_b32_e32 v1, 2, v11
	v_cmp_gt_u32_e32 vcc, s21, v1
	s_and_saveexec_b64 s[2:3], vcc
	s_cbranch_execz .LBB8_78
; %bb.77:
	ds_read_u8 v1, v18
	s_waitcnt lgkmcnt(0)
	global_store_byte v12, v1, s[18:19] offset:2
.LBB8_78:
	;; [unrolled: 10-line block ×6, first 2 shown]
	s_or_b64 exec, exec, s[2:3]
	v_or_b32_e32 v1, 7, v11
	v_cmp_gt_u32_e32 vcc, s21, v1
	s_and_saveexec_b64 s[2:3], vcc
; %bb.87:
	v_mov_b32_e32 v13, 0
	s_or_b64 s[0:1], s[0:1], exec
; %bb.88:
	s_or_b64 exec, exec, s[2:3]
.LBB8_89:
	s_and_saveexec_b64 s[2:3], s[0:1]
	s_cbranch_execz .LBB8_91
; %bb.90:
	ds_read_u8 v1, v20
	v_lshl_add_u64 v[12:13], s[18:19], 0, v[12:13]
	s_waitcnt lgkmcnt(0)
	global_store_byte v[12:13], v1, off offset:7
.LBB8_91:
	s_or_b64 exec, exec, s[2:3]
	v_and_b32_e32 v1, 0x7c, v0
	v_lshl_add_u32 v1, v11, 2, v1
	s_barrier
	s_barrier
	ds_write2_b32 v1, v2, v3 offset1:1
	ds_write2_b32 v1, v4, v5 offset0:2 offset1:3
	ds_write2_b32 v1, v6, v7 offset0:4 offset1:5
	;; [unrolled: 1-line block ×3, first 2 shown]
	v_lshrrev_b32_e32 v1, 3, v0
	v_and_b32_e32 v1, 12, v1
	v_or_b32_e32 v9, 0x80, v0
	v_add_u32_e32 v11, v1, v10
	v_lshrrev_b32_e32 v1, 3, v9
	v_and_b32_e32 v1, 28, v1
	v_or_b32_e32 v8, 0x100, v0
	v_add_u32_e32 v12, v1, v10
	;; [unrolled: 4-line block ×6, first 2 shown]
	v_lshrrev_b32_e32 v1, 3, v4
	v_and_b32_e32 v1, 0x6c, v1
	s_mov_b32 s23, 0
	v_add_u32_e32 v17, v1, v10
	v_or_b32_e32 v1, 0x380, v0
	s_lshl_b64 s[0:1], s[22:23], 2
	v_lshrrev_b32_e32 v2, 3, v1
	s_add_u32 s0, s14, s0
	v_and_b32_e32 v2, 0x7c, v2
	s_addc_u32 s1, s15, s1
	v_add_u32_e32 v18, v2, v10
	v_lshlrev_b32_e32 v2, 2, v0
	v_mov_b32_e32 v3, 0
	v_lshl_add_u64 v[2:3], s[0:1], 0, v[2:3]
	s_and_b64 vcc, exec, s[24:25]
	s_waitcnt lgkmcnt(0)
	s_cbranch_vccz .LBB8_93
; %bb.92:
	s_barrier
	ds_read_b32 v10, v11
	ds_read_b32 v19, v12 offset:512
	ds_read_b32 v20, v13 offset:1024
	;; [unrolled: 1-line block ×7, first 2 shown]
	s_waitcnt lgkmcnt(7)
	global_store_dword v[2:3], v10, off
	s_waitcnt lgkmcnt(6)
	global_store_dword v[2:3], v19, off offset:512
	s_waitcnt lgkmcnt(5)
	global_store_dword v[2:3], v20, off offset:1024
	;; [unrolled: 2-line block ×6, first 2 shown]
	s_mov_b64 s[0:1], -1
	s_cbranch_execz .LBB8_94
	s_branch .LBB8_103
.LBB8_93:
	s_mov_b64 s[0:1], 0
                                        ; implicit-def: $vgpr21
.LBB8_94:
	s_barrier
	s_waitcnt lgkmcnt(0)
	ds_read_b32 v20, v12 offset:512
	ds_read_b32 v19, v13 offset:1024
	;; [unrolled: 1-line block ×7, first 2 shown]
	s_sub_i32 s2, s20, s22
	v_cmp_gt_u32_e32 vcc, s2, v0
	s_and_saveexec_b64 s[0:1], vcc
	s_cbranch_execnz .LBB8_106
; %bb.95:
	s_or_b64 exec, exec, s[0:1]
	v_cmp_gt_u32_e32 vcc, s2, v9
	s_and_saveexec_b64 s[0:1], vcc
	s_cbranch_execnz .LBB8_107
.LBB8_96:
	s_or_b64 exec, exec, s[0:1]
	v_cmp_gt_u32_e32 vcc, s2, v8
	s_and_saveexec_b64 s[0:1], vcc
	s_cbranch_execnz .LBB8_108
.LBB8_97:
	s_or_b64 exec, exec, s[0:1]
	v_cmp_gt_u32_e32 vcc, s2, v7
	s_and_saveexec_b64 s[0:1], vcc
	s_cbranch_execnz .LBB8_109
.LBB8_98:
	s_or_b64 exec, exec, s[0:1]
	v_cmp_gt_u32_e32 vcc, s2, v6
	s_and_saveexec_b64 s[0:1], vcc
	s_cbranch_execnz .LBB8_110
.LBB8_99:
	s_or_b64 exec, exec, s[0:1]
	v_cmp_gt_u32_e32 vcc, s2, v5
	s_and_saveexec_b64 s[0:1], vcc
	s_cbranch_execnz .LBB8_111
.LBB8_100:
	s_or_b64 exec, exec, s[0:1]
	v_cmp_gt_u32_e32 vcc, s2, v4
	s_and_saveexec_b64 s[0:1], vcc
	s_cbranch_execz .LBB8_102
.LBB8_101:
	s_waitcnt lgkmcnt(1)
	global_store_dword v[2:3], v10, off offset:3072
.LBB8_102:
	s_or_b64 exec, exec, s[0:1]
	v_cmp_gt_u32_e64 s[0:1], s2, v1
.LBB8_103:
	s_and_saveexec_b64 s[2:3], s[0:1]
	s_cbranch_execz .LBB8_105
; %bb.104:
	s_waitcnt lgkmcnt(0)
	global_store_dword v[2:3], v21, off offset:3584
.LBB8_105:
	s_endpgm
.LBB8_106:
	ds_read_b32 v0, v11
	s_waitcnt lgkmcnt(0)
	global_store_dword v[2:3], v0, off
	s_or_b64 exec, exec, s[0:1]
	v_cmp_gt_u32_e32 vcc, s2, v9
	s_and_saveexec_b64 s[0:1], vcc
	s_cbranch_execz .LBB8_96
.LBB8_107:
	s_waitcnt lgkmcnt(6)
	global_store_dword v[2:3], v20, off offset:512
	s_or_b64 exec, exec, s[0:1]
	v_cmp_gt_u32_e32 vcc, s2, v8
	s_and_saveexec_b64 s[0:1], vcc
	s_cbranch_execz .LBB8_97
.LBB8_108:
	s_waitcnt lgkmcnt(5)
	global_store_dword v[2:3], v19, off offset:1024
	s_or_b64 exec, exec, s[0:1]
	v_cmp_gt_u32_e32 vcc, s2, v7
	s_and_saveexec_b64 s[0:1], vcc
	s_cbranch_execz .LBB8_98
.LBB8_109:
	s_waitcnt lgkmcnt(4)
	global_store_dword v[2:3], v14, off offset:1536
	s_or_b64 exec, exec, s[0:1]
	v_cmp_gt_u32_e32 vcc, s2, v6
	s_and_saveexec_b64 s[0:1], vcc
	s_cbranch_execz .LBB8_99
.LBB8_110:
	s_waitcnt lgkmcnt(3)
	global_store_dword v[2:3], v13, off offset:2048
	s_or_b64 exec, exec, s[0:1]
	v_cmp_gt_u32_e32 vcc, s2, v5
	s_and_saveexec_b64 s[0:1], vcc
	s_cbranch_execz .LBB8_100
.LBB8_111:
	s_waitcnt lgkmcnt(2)
	global_store_dword v[2:3], v12, off offset:2560
	s_or_b64 exec, exec, s[0:1]
	v_cmp_gt_u32_e32 vcc, s2, v4
	s_and_saveexec_b64 s[0:1], vcc
	s_cbranch_execnz .LBB8_101
	s_branch .LBB8_102
	.section	.rodata,"a",@progbits
	.p2align	6, 0x0
	.amdhsa_kernel _ZN7rocprim17ROCPRIM_304000_NS6detail35device_block_merge_mergepath_kernelINS1_37wrapped_merge_sort_block_merge_configINS0_14default_configEiN2at4cuda3cub6detail10OpaqueTypeILi1EEEEEPiSC_PSA_SD_jNS1_19radix_merge_compareILb1ELb1EiNS0_19identity_decomposerEEEEEvT0_T1_T2_T3_T4_SL_jT5_PKSL_NS1_7vsmem_tE
		.amdhsa_group_segment_fixed_size 4224
		.amdhsa_private_segment_fixed_size 0
		.amdhsa_kernarg_size 320
		.amdhsa_user_sgpr_count 2
		.amdhsa_user_sgpr_dispatch_ptr 0
		.amdhsa_user_sgpr_queue_ptr 0
		.amdhsa_user_sgpr_kernarg_segment_ptr 1
		.amdhsa_user_sgpr_dispatch_id 0
		.amdhsa_user_sgpr_kernarg_preload_length 0
		.amdhsa_user_sgpr_kernarg_preload_offset 0
		.amdhsa_user_sgpr_private_segment_size 0
		.amdhsa_uses_dynamic_stack 0
		.amdhsa_enable_private_segment 0
		.amdhsa_system_sgpr_workgroup_id_x 1
		.amdhsa_system_sgpr_workgroup_id_y 1
		.amdhsa_system_sgpr_workgroup_id_z 1
		.amdhsa_system_sgpr_workgroup_info 0
		.amdhsa_system_vgpr_workitem_id 0
		.amdhsa_next_free_vgpr 35
		.amdhsa_next_free_sgpr 35
		.amdhsa_accum_offset 36
		.amdhsa_reserve_vcc 1
		.amdhsa_float_round_mode_32 0
		.amdhsa_float_round_mode_16_64 0
		.amdhsa_float_denorm_mode_32 3
		.amdhsa_float_denorm_mode_16_64 3
		.amdhsa_dx10_clamp 1
		.amdhsa_ieee_mode 1
		.amdhsa_fp16_overflow 0
		.amdhsa_tg_split 0
		.amdhsa_exception_fp_ieee_invalid_op 0
		.amdhsa_exception_fp_denorm_src 0
		.amdhsa_exception_fp_ieee_div_zero 0
		.amdhsa_exception_fp_ieee_overflow 0
		.amdhsa_exception_fp_ieee_underflow 0
		.amdhsa_exception_fp_ieee_inexact 0
		.amdhsa_exception_int_div_zero 0
	.end_amdhsa_kernel
	.section	.text._ZN7rocprim17ROCPRIM_304000_NS6detail35device_block_merge_mergepath_kernelINS1_37wrapped_merge_sort_block_merge_configINS0_14default_configEiN2at4cuda3cub6detail10OpaqueTypeILi1EEEEEPiSC_PSA_SD_jNS1_19radix_merge_compareILb1ELb1EiNS0_19identity_decomposerEEEEEvT0_T1_T2_T3_T4_SL_jT5_PKSL_NS1_7vsmem_tE,"axG",@progbits,_ZN7rocprim17ROCPRIM_304000_NS6detail35device_block_merge_mergepath_kernelINS1_37wrapped_merge_sort_block_merge_configINS0_14default_configEiN2at4cuda3cub6detail10OpaqueTypeILi1EEEEEPiSC_PSA_SD_jNS1_19radix_merge_compareILb1ELb1EiNS0_19identity_decomposerEEEEEvT0_T1_T2_T3_T4_SL_jT5_PKSL_NS1_7vsmem_tE,comdat
.Lfunc_end8:
	.size	_ZN7rocprim17ROCPRIM_304000_NS6detail35device_block_merge_mergepath_kernelINS1_37wrapped_merge_sort_block_merge_configINS0_14default_configEiN2at4cuda3cub6detail10OpaqueTypeILi1EEEEEPiSC_PSA_SD_jNS1_19radix_merge_compareILb1ELb1EiNS0_19identity_decomposerEEEEEvT0_T1_T2_T3_T4_SL_jT5_PKSL_NS1_7vsmem_tE, .Lfunc_end8-_ZN7rocprim17ROCPRIM_304000_NS6detail35device_block_merge_mergepath_kernelINS1_37wrapped_merge_sort_block_merge_configINS0_14default_configEiN2at4cuda3cub6detail10OpaqueTypeILi1EEEEEPiSC_PSA_SD_jNS1_19radix_merge_compareILb1ELb1EiNS0_19identity_decomposerEEEEEvT0_T1_T2_T3_T4_SL_jT5_PKSL_NS1_7vsmem_tE
                                        ; -- End function
	.set _ZN7rocprim17ROCPRIM_304000_NS6detail35device_block_merge_mergepath_kernelINS1_37wrapped_merge_sort_block_merge_configINS0_14default_configEiN2at4cuda3cub6detail10OpaqueTypeILi1EEEEEPiSC_PSA_SD_jNS1_19radix_merge_compareILb1ELb1EiNS0_19identity_decomposerEEEEEvT0_T1_T2_T3_T4_SL_jT5_PKSL_NS1_7vsmem_tE.num_vgpr, 35
	.set _ZN7rocprim17ROCPRIM_304000_NS6detail35device_block_merge_mergepath_kernelINS1_37wrapped_merge_sort_block_merge_configINS0_14default_configEiN2at4cuda3cub6detail10OpaqueTypeILi1EEEEEPiSC_PSA_SD_jNS1_19radix_merge_compareILb1ELb1EiNS0_19identity_decomposerEEEEEvT0_T1_T2_T3_T4_SL_jT5_PKSL_NS1_7vsmem_tE.num_agpr, 0
	.set _ZN7rocprim17ROCPRIM_304000_NS6detail35device_block_merge_mergepath_kernelINS1_37wrapped_merge_sort_block_merge_configINS0_14default_configEiN2at4cuda3cub6detail10OpaqueTypeILi1EEEEEPiSC_PSA_SD_jNS1_19radix_merge_compareILb1ELb1EiNS0_19identity_decomposerEEEEEvT0_T1_T2_T3_T4_SL_jT5_PKSL_NS1_7vsmem_tE.numbered_sgpr, 35
	.set _ZN7rocprim17ROCPRIM_304000_NS6detail35device_block_merge_mergepath_kernelINS1_37wrapped_merge_sort_block_merge_configINS0_14default_configEiN2at4cuda3cub6detail10OpaqueTypeILi1EEEEEPiSC_PSA_SD_jNS1_19radix_merge_compareILb1ELb1EiNS0_19identity_decomposerEEEEEvT0_T1_T2_T3_T4_SL_jT5_PKSL_NS1_7vsmem_tE.num_named_barrier, 0
	.set _ZN7rocprim17ROCPRIM_304000_NS6detail35device_block_merge_mergepath_kernelINS1_37wrapped_merge_sort_block_merge_configINS0_14default_configEiN2at4cuda3cub6detail10OpaqueTypeILi1EEEEEPiSC_PSA_SD_jNS1_19radix_merge_compareILb1ELb1EiNS0_19identity_decomposerEEEEEvT0_T1_T2_T3_T4_SL_jT5_PKSL_NS1_7vsmem_tE.private_seg_size, 0
	.set _ZN7rocprim17ROCPRIM_304000_NS6detail35device_block_merge_mergepath_kernelINS1_37wrapped_merge_sort_block_merge_configINS0_14default_configEiN2at4cuda3cub6detail10OpaqueTypeILi1EEEEEPiSC_PSA_SD_jNS1_19radix_merge_compareILb1ELb1EiNS0_19identity_decomposerEEEEEvT0_T1_T2_T3_T4_SL_jT5_PKSL_NS1_7vsmem_tE.uses_vcc, 1
	.set _ZN7rocprim17ROCPRIM_304000_NS6detail35device_block_merge_mergepath_kernelINS1_37wrapped_merge_sort_block_merge_configINS0_14default_configEiN2at4cuda3cub6detail10OpaqueTypeILi1EEEEEPiSC_PSA_SD_jNS1_19radix_merge_compareILb1ELb1EiNS0_19identity_decomposerEEEEEvT0_T1_T2_T3_T4_SL_jT5_PKSL_NS1_7vsmem_tE.uses_flat_scratch, 0
	.set _ZN7rocprim17ROCPRIM_304000_NS6detail35device_block_merge_mergepath_kernelINS1_37wrapped_merge_sort_block_merge_configINS0_14default_configEiN2at4cuda3cub6detail10OpaqueTypeILi1EEEEEPiSC_PSA_SD_jNS1_19radix_merge_compareILb1ELb1EiNS0_19identity_decomposerEEEEEvT0_T1_T2_T3_T4_SL_jT5_PKSL_NS1_7vsmem_tE.has_dyn_sized_stack, 0
	.set _ZN7rocprim17ROCPRIM_304000_NS6detail35device_block_merge_mergepath_kernelINS1_37wrapped_merge_sort_block_merge_configINS0_14default_configEiN2at4cuda3cub6detail10OpaqueTypeILi1EEEEEPiSC_PSA_SD_jNS1_19radix_merge_compareILb1ELb1EiNS0_19identity_decomposerEEEEEvT0_T1_T2_T3_T4_SL_jT5_PKSL_NS1_7vsmem_tE.has_recursion, 0
	.set _ZN7rocprim17ROCPRIM_304000_NS6detail35device_block_merge_mergepath_kernelINS1_37wrapped_merge_sort_block_merge_configINS0_14default_configEiN2at4cuda3cub6detail10OpaqueTypeILi1EEEEEPiSC_PSA_SD_jNS1_19radix_merge_compareILb1ELb1EiNS0_19identity_decomposerEEEEEvT0_T1_T2_T3_T4_SL_jT5_PKSL_NS1_7vsmem_tE.has_indirect_call, 0
	.section	.AMDGPU.csdata,"",@progbits
; Kernel info:
; codeLenInByte = 5168
; TotalNumSgprs: 41
; NumVgprs: 35
; NumAgprs: 0
; TotalNumVgprs: 35
; ScratchSize: 0
; MemoryBound: 0
; FloatMode: 240
; IeeeMode: 1
; LDSByteSize: 4224 bytes/workgroup (compile time only)
; SGPRBlocks: 5
; VGPRBlocks: 4
; NumSGPRsForWavesPerEU: 41
; NumVGPRsForWavesPerEU: 35
; AccumOffset: 36
; Occupancy: 8
; WaveLimiterHint : 1
; COMPUTE_PGM_RSRC2:SCRATCH_EN: 0
; COMPUTE_PGM_RSRC2:USER_SGPR: 2
; COMPUTE_PGM_RSRC2:TRAP_HANDLER: 0
; COMPUTE_PGM_RSRC2:TGID_X_EN: 1
; COMPUTE_PGM_RSRC2:TGID_Y_EN: 1
; COMPUTE_PGM_RSRC2:TGID_Z_EN: 1
; COMPUTE_PGM_RSRC2:TIDIG_COMP_CNT: 0
; COMPUTE_PGM_RSRC3_GFX90A:ACCUM_OFFSET: 8
; COMPUTE_PGM_RSRC3_GFX90A:TG_SPLIT: 0
	.section	.text._ZN7rocprim17ROCPRIM_304000_NS6detail33device_block_merge_oddeven_kernelINS1_37wrapped_merge_sort_block_merge_configINS0_14default_configEiN2at4cuda3cub6detail10OpaqueTypeILi1EEEEEPiSC_PSA_SD_jNS1_19radix_merge_compareILb1ELb1EiNS0_19identity_decomposerEEEEEvT0_T1_T2_T3_T4_SL_T5_,"axG",@progbits,_ZN7rocprim17ROCPRIM_304000_NS6detail33device_block_merge_oddeven_kernelINS1_37wrapped_merge_sort_block_merge_configINS0_14default_configEiN2at4cuda3cub6detail10OpaqueTypeILi1EEEEEPiSC_PSA_SD_jNS1_19radix_merge_compareILb1ELb1EiNS0_19identity_decomposerEEEEEvT0_T1_T2_T3_T4_SL_T5_,comdat
	.protected	_ZN7rocprim17ROCPRIM_304000_NS6detail33device_block_merge_oddeven_kernelINS1_37wrapped_merge_sort_block_merge_configINS0_14default_configEiN2at4cuda3cub6detail10OpaqueTypeILi1EEEEEPiSC_PSA_SD_jNS1_19radix_merge_compareILb1ELb1EiNS0_19identity_decomposerEEEEEvT0_T1_T2_T3_T4_SL_T5_ ; -- Begin function _ZN7rocprim17ROCPRIM_304000_NS6detail33device_block_merge_oddeven_kernelINS1_37wrapped_merge_sort_block_merge_configINS0_14default_configEiN2at4cuda3cub6detail10OpaqueTypeILi1EEEEEPiSC_PSA_SD_jNS1_19radix_merge_compareILb1ELb1EiNS0_19identity_decomposerEEEEEvT0_T1_T2_T3_T4_SL_T5_
	.globl	_ZN7rocprim17ROCPRIM_304000_NS6detail33device_block_merge_oddeven_kernelINS1_37wrapped_merge_sort_block_merge_configINS0_14default_configEiN2at4cuda3cub6detail10OpaqueTypeILi1EEEEEPiSC_PSA_SD_jNS1_19radix_merge_compareILb1ELb1EiNS0_19identity_decomposerEEEEEvT0_T1_T2_T3_T4_SL_T5_
	.p2align	8
	.type	_ZN7rocprim17ROCPRIM_304000_NS6detail33device_block_merge_oddeven_kernelINS1_37wrapped_merge_sort_block_merge_configINS0_14default_configEiN2at4cuda3cub6detail10OpaqueTypeILi1EEEEEPiSC_PSA_SD_jNS1_19radix_merge_compareILb1ELb1EiNS0_19identity_decomposerEEEEEvT0_T1_T2_T3_T4_SL_T5_,@function
_ZN7rocprim17ROCPRIM_304000_NS6detail33device_block_merge_oddeven_kernelINS1_37wrapped_merge_sort_block_merge_configINS0_14default_configEiN2at4cuda3cub6detail10OpaqueTypeILi1EEEEEPiSC_PSA_SD_jNS1_19radix_merge_compareILb1ELb1EiNS0_19identity_decomposerEEEEEvT0_T1_T2_T3_T4_SL_T5_: ; @_ZN7rocprim17ROCPRIM_304000_NS6detail33device_block_merge_oddeven_kernelINS1_37wrapped_merge_sort_block_merge_configINS0_14default_configEiN2at4cuda3cub6detail10OpaqueTypeILi1EEEEEPiSC_PSA_SD_jNS1_19radix_merge_compareILb1ELb1EiNS0_19identity_decomposerEEEEEvT0_T1_T2_T3_T4_SL_T5_
; %bb.0:
	s_load_dwordx4 s[16:19], s[0:1], 0x20
	s_waitcnt lgkmcnt(0)
	s_lshr_b32 s3, s16, 8
	s_cmp_eq_u32 s2, s3
	s_cselect_b64 s[6:7], -1, 0
	s_cmp_lg_u32 s2, s3
	s_cselect_b64 s[8:9], -1, 0
	s_lshl_b32 s20, s2, 8
	s_sub_i32 s3, s16, s20
	v_cmp_gt_u32_e64 s[4:5], s3, v0
	s_or_b64 s[8:9], s[8:9], s[4:5]
	s_and_saveexec_b64 s[10:11], s[8:9]
	s_cbranch_execz .LBB9_24
; %bb.1:
	s_load_dwordx8 s[8:15], s[0:1], 0x0
	s_mov_b32 s21, 0
	s_lshl_b64 s[0:1], s[20:21], 2
	v_lshlrev_b32_e32 v1, 2, v0
	s_waitcnt lgkmcnt(0)
	s_add_u32 s0, s8, s0
	s_addc_u32 s1, s9, s1
	s_add_u32 s12, s12, s20
	s_addc_u32 s13, s13, 0
	global_load_ubyte v2, v0, s[12:13]
	global_load_dword v3, v1, s[0:1]
	s_lshr_b32 s0, s17, 8
	s_sub_i32 s1, 0, s0
	s_and_b32 s1, s2, s1
	s_and_b32 s0, s1, s0
	s_lshl_b32 s19, s1, 8
	s_sub_i32 s12, 0, s17
	s_cmp_eq_u32 s0, 0
	s_cselect_b64 s[0:1], -1, 0
	s_and_b64 s[2:3], s[0:1], exec
	s_cselect_b32 s12, s17, s12
	s_add_i32 s12, s12, s19
	s_mov_b64 s[2:3], -1
	s_cmp_gt_u32 s16, s12
	v_add_u32_e32 v0, s20, v0
	s_cbranch_scc1 .LBB9_9
; %bb.2:
	s_and_b64 vcc, exec, s[6:7]
	s_cbranch_vccz .LBB9_6
; %bb.3:
	v_cmp_gt_u32_e32 vcc, s16, v0
	s_and_saveexec_b64 s[2:3], vcc
	s_cbranch_execz .LBB9_5
; %bb.4:
	v_mov_b32_e32 v1, 0
	v_lshl_add_u64 v[4:5], v[0:1], 2, s[10:11]
	s_waitcnt vmcnt(0)
	global_store_dword v[4:5], v3, off
	global_store_byte v0, v2, s[14:15]
.LBB9_5:
	s_or_b64 exec, exec, s[2:3]
	s_mov_b64 s[2:3], 0
.LBB9_6:
	s_andn2_b64 vcc, exec, s[2:3]
	s_cbranch_vccnz .LBB9_8
; %bb.7:
	v_mov_b32_e32 v1, 0
	v_lshl_add_u64 v[4:5], v[0:1], 2, s[10:11]
	s_waitcnt vmcnt(0)
	global_store_dword v[4:5], v3, off
	global_store_byte v0, v2, s[14:15]
.LBB9_8:
	s_mov_b64 s[2:3], 0
.LBB9_9:
	s_andn2_b64 vcc, exec, s[2:3]
	s_cbranch_vccnz .LBB9_24
; %bb.10:
	s_min_u32 s13, s12, s16
	s_add_i32 s2, s13, s17
	s_min_u32 s16, s2, s16
	s_min_u32 s2, s19, s13
	s_add_i32 s19, s19, s13
	v_subrev_u32_e32 v0, s19, v0
	v_add_u32_e32 v4, s2, v0
	s_waitcnt vmcnt(0)
	v_and_b32_e32 v5, s18, v3
	s_mov_b64 s[2:3], -1
	s_and_b64 vcc, exec, s[6:7]
	s_cbranch_vccz .LBB9_18
; %bb.11:
	s_and_saveexec_b64 s[2:3], s[4:5]
	s_cbranch_execz .LBB9_17
; %bb.12:
	s_cmp_ge_u32 s12, s16
	v_mov_b32_e32 v6, s13
	s_cbranch_scc1 .LBB9_16
; %bb.13:
	s_mov_b64 s[4:5], 0
	v_mov_b32_e32 v7, s16
	v_mov_b32_e32 v6, s13
	;; [unrolled: 1-line block ×3, first 2 shown]
.LBB9_14:                               ; =>This Inner Loop Header: Depth=1
	v_add_u32_e32 v0, v6, v7
	v_lshrrev_b32_e32 v0, 1, v0
	v_lshl_add_u64 v[8:9], v[0:1], 2, s[8:9]
	global_load_dword v8, v[8:9], off
	v_add_u32_e32 v9, 1, v0
	s_waitcnt vmcnt(0)
	v_and_b32_e32 v8, s18, v8
	v_cmp_gt_i32_e32 vcc, v8, v5
	s_nop 1
	v_cndmask_b32_e64 v10, 0, 1, vcc
	v_cmp_le_i32_e32 vcc, v5, v8
	s_nop 1
	v_cndmask_b32_e64 v8, 0, 1, vcc
	v_cndmask_b32_e64 v8, v8, v10, s[0:1]
	v_and_b32_e32 v8, 1, v8
	v_cmp_eq_u32_e32 vcc, 1, v8
	s_nop 1
	v_cndmask_b32_e32 v7, v0, v7, vcc
	v_cndmask_b32_e32 v6, v6, v9, vcc
	v_cmp_ge_u32_e32 vcc, v6, v7
	s_or_b64 s[4:5], vcc, s[4:5]
	s_andn2_b64 exec, exec, s[4:5]
	s_cbranch_execnz .LBB9_14
; %bb.15:
	s_or_b64 exec, exec, s[4:5]
.LBB9_16:
	v_add_u32_e32 v0, v6, v4
	v_mov_b32_e32 v1, 0
	v_lshl_add_u64 v[6:7], v[0:1], 2, s[10:11]
	global_store_dword v[6:7], v3, off
	global_store_byte v0, v2, s[14:15]
.LBB9_17:
	s_or_b64 exec, exec, s[2:3]
	s_mov_b64 s[2:3], 0
.LBB9_18:
	s_andn2_b64 vcc, exec, s[2:3]
	s_cbranch_vccnz .LBB9_24
; %bb.19:
	s_cmp_ge_u32 s12, s16
	v_mov_b32_e32 v6, s13
	s_cbranch_scc1 .LBB9_23
; %bb.20:
	s_mov_b64 s[2:3], 0
	v_mov_b32_e32 v7, s16
	v_mov_b32_e32 v6, s13
	;; [unrolled: 1-line block ×3, first 2 shown]
.LBB9_21:                               ; =>This Inner Loop Header: Depth=1
	v_add_u32_e32 v0, v6, v7
	v_lshrrev_b32_e32 v0, 1, v0
	v_lshl_add_u64 v[8:9], v[0:1], 2, s[8:9]
	global_load_dword v8, v[8:9], off
	v_add_u32_e32 v9, 1, v0
	s_waitcnt vmcnt(0)
	v_and_b32_e32 v8, s18, v8
	v_cmp_gt_i32_e32 vcc, v8, v5
	s_nop 1
	v_cndmask_b32_e64 v10, 0, 1, vcc
	v_cmp_le_i32_e32 vcc, v5, v8
	s_nop 1
	v_cndmask_b32_e64 v8, 0, 1, vcc
	v_cndmask_b32_e64 v8, v8, v10, s[0:1]
	v_and_b32_e32 v8, 1, v8
	v_cmp_eq_u32_e32 vcc, 1, v8
	s_nop 1
	v_cndmask_b32_e32 v7, v0, v7, vcc
	v_cndmask_b32_e32 v6, v6, v9, vcc
	v_cmp_ge_u32_e32 vcc, v6, v7
	s_or_b64 s[2:3], vcc, s[2:3]
	s_andn2_b64 exec, exec, s[2:3]
	s_cbranch_execnz .LBB9_21
; %bb.22:
	s_or_b64 exec, exec, s[2:3]
.LBB9_23:
	v_add_u32_e32 v0, v6, v4
	v_mov_b32_e32 v1, 0
	v_lshl_add_u64 v[4:5], v[0:1], 2, s[10:11]
	global_store_dword v[4:5], v3, off
	global_store_byte v0, v2, s[14:15]
.LBB9_24:
	s_endpgm
	.section	.rodata,"a",@progbits
	.p2align	6, 0x0
	.amdhsa_kernel _ZN7rocprim17ROCPRIM_304000_NS6detail33device_block_merge_oddeven_kernelINS1_37wrapped_merge_sort_block_merge_configINS0_14default_configEiN2at4cuda3cub6detail10OpaqueTypeILi1EEEEEPiSC_PSA_SD_jNS1_19radix_merge_compareILb1ELb1EiNS0_19identity_decomposerEEEEEvT0_T1_T2_T3_T4_SL_T5_
		.amdhsa_group_segment_fixed_size 0
		.amdhsa_private_segment_fixed_size 0
		.amdhsa_kernarg_size 44
		.amdhsa_user_sgpr_count 2
		.amdhsa_user_sgpr_dispatch_ptr 0
		.amdhsa_user_sgpr_queue_ptr 0
		.amdhsa_user_sgpr_kernarg_segment_ptr 1
		.amdhsa_user_sgpr_dispatch_id 0
		.amdhsa_user_sgpr_kernarg_preload_length 0
		.amdhsa_user_sgpr_kernarg_preload_offset 0
		.amdhsa_user_sgpr_private_segment_size 0
		.amdhsa_uses_dynamic_stack 0
		.amdhsa_enable_private_segment 0
		.amdhsa_system_sgpr_workgroup_id_x 1
		.amdhsa_system_sgpr_workgroup_id_y 0
		.amdhsa_system_sgpr_workgroup_id_z 0
		.amdhsa_system_sgpr_workgroup_info 0
		.amdhsa_system_vgpr_workitem_id 0
		.amdhsa_next_free_vgpr 11
		.amdhsa_next_free_sgpr 22
		.amdhsa_accum_offset 12
		.amdhsa_reserve_vcc 1
		.amdhsa_float_round_mode_32 0
		.amdhsa_float_round_mode_16_64 0
		.amdhsa_float_denorm_mode_32 3
		.amdhsa_float_denorm_mode_16_64 3
		.amdhsa_dx10_clamp 1
		.amdhsa_ieee_mode 1
		.amdhsa_fp16_overflow 0
		.amdhsa_tg_split 0
		.amdhsa_exception_fp_ieee_invalid_op 0
		.amdhsa_exception_fp_denorm_src 0
		.amdhsa_exception_fp_ieee_div_zero 0
		.amdhsa_exception_fp_ieee_overflow 0
		.amdhsa_exception_fp_ieee_underflow 0
		.amdhsa_exception_fp_ieee_inexact 0
		.amdhsa_exception_int_div_zero 0
	.end_amdhsa_kernel
	.section	.text._ZN7rocprim17ROCPRIM_304000_NS6detail33device_block_merge_oddeven_kernelINS1_37wrapped_merge_sort_block_merge_configINS0_14default_configEiN2at4cuda3cub6detail10OpaqueTypeILi1EEEEEPiSC_PSA_SD_jNS1_19radix_merge_compareILb1ELb1EiNS0_19identity_decomposerEEEEEvT0_T1_T2_T3_T4_SL_T5_,"axG",@progbits,_ZN7rocprim17ROCPRIM_304000_NS6detail33device_block_merge_oddeven_kernelINS1_37wrapped_merge_sort_block_merge_configINS0_14default_configEiN2at4cuda3cub6detail10OpaqueTypeILi1EEEEEPiSC_PSA_SD_jNS1_19radix_merge_compareILb1ELb1EiNS0_19identity_decomposerEEEEEvT0_T1_T2_T3_T4_SL_T5_,comdat
.Lfunc_end9:
	.size	_ZN7rocprim17ROCPRIM_304000_NS6detail33device_block_merge_oddeven_kernelINS1_37wrapped_merge_sort_block_merge_configINS0_14default_configEiN2at4cuda3cub6detail10OpaqueTypeILi1EEEEEPiSC_PSA_SD_jNS1_19radix_merge_compareILb1ELb1EiNS0_19identity_decomposerEEEEEvT0_T1_T2_T3_T4_SL_T5_, .Lfunc_end9-_ZN7rocprim17ROCPRIM_304000_NS6detail33device_block_merge_oddeven_kernelINS1_37wrapped_merge_sort_block_merge_configINS0_14default_configEiN2at4cuda3cub6detail10OpaqueTypeILi1EEEEEPiSC_PSA_SD_jNS1_19radix_merge_compareILb1ELb1EiNS0_19identity_decomposerEEEEEvT0_T1_T2_T3_T4_SL_T5_
                                        ; -- End function
	.set _ZN7rocprim17ROCPRIM_304000_NS6detail33device_block_merge_oddeven_kernelINS1_37wrapped_merge_sort_block_merge_configINS0_14default_configEiN2at4cuda3cub6detail10OpaqueTypeILi1EEEEEPiSC_PSA_SD_jNS1_19radix_merge_compareILb1ELb1EiNS0_19identity_decomposerEEEEEvT0_T1_T2_T3_T4_SL_T5_.num_vgpr, 11
	.set _ZN7rocprim17ROCPRIM_304000_NS6detail33device_block_merge_oddeven_kernelINS1_37wrapped_merge_sort_block_merge_configINS0_14default_configEiN2at4cuda3cub6detail10OpaqueTypeILi1EEEEEPiSC_PSA_SD_jNS1_19radix_merge_compareILb1ELb1EiNS0_19identity_decomposerEEEEEvT0_T1_T2_T3_T4_SL_T5_.num_agpr, 0
	.set _ZN7rocprim17ROCPRIM_304000_NS6detail33device_block_merge_oddeven_kernelINS1_37wrapped_merge_sort_block_merge_configINS0_14default_configEiN2at4cuda3cub6detail10OpaqueTypeILi1EEEEEPiSC_PSA_SD_jNS1_19radix_merge_compareILb1ELb1EiNS0_19identity_decomposerEEEEEvT0_T1_T2_T3_T4_SL_T5_.numbered_sgpr, 22
	.set _ZN7rocprim17ROCPRIM_304000_NS6detail33device_block_merge_oddeven_kernelINS1_37wrapped_merge_sort_block_merge_configINS0_14default_configEiN2at4cuda3cub6detail10OpaqueTypeILi1EEEEEPiSC_PSA_SD_jNS1_19radix_merge_compareILb1ELb1EiNS0_19identity_decomposerEEEEEvT0_T1_T2_T3_T4_SL_T5_.num_named_barrier, 0
	.set _ZN7rocprim17ROCPRIM_304000_NS6detail33device_block_merge_oddeven_kernelINS1_37wrapped_merge_sort_block_merge_configINS0_14default_configEiN2at4cuda3cub6detail10OpaqueTypeILi1EEEEEPiSC_PSA_SD_jNS1_19radix_merge_compareILb1ELb1EiNS0_19identity_decomposerEEEEEvT0_T1_T2_T3_T4_SL_T5_.private_seg_size, 0
	.set _ZN7rocprim17ROCPRIM_304000_NS6detail33device_block_merge_oddeven_kernelINS1_37wrapped_merge_sort_block_merge_configINS0_14default_configEiN2at4cuda3cub6detail10OpaqueTypeILi1EEEEEPiSC_PSA_SD_jNS1_19radix_merge_compareILb1ELb1EiNS0_19identity_decomposerEEEEEvT0_T1_T2_T3_T4_SL_T5_.uses_vcc, 1
	.set _ZN7rocprim17ROCPRIM_304000_NS6detail33device_block_merge_oddeven_kernelINS1_37wrapped_merge_sort_block_merge_configINS0_14default_configEiN2at4cuda3cub6detail10OpaqueTypeILi1EEEEEPiSC_PSA_SD_jNS1_19radix_merge_compareILb1ELb1EiNS0_19identity_decomposerEEEEEvT0_T1_T2_T3_T4_SL_T5_.uses_flat_scratch, 0
	.set _ZN7rocprim17ROCPRIM_304000_NS6detail33device_block_merge_oddeven_kernelINS1_37wrapped_merge_sort_block_merge_configINS0_14default_configEiN2at4cuda3cub6detail10OpaqueTypeILi1EEEEEPiSC_PSA_SD_jNS1_19radix_merge_compareILb1ELb1EiNS0_19identity_decomposerEEEEEvT0_T1_T2_T3_T4_SL_T5_.has_dyn_sized_stack, 0
	.set _ZN7rocprim17ROCPRIM_304000_NS6detail33device_block_merge_oddeven_kernelINS1_37wrapped_merge_sort_block_merge_configINS0_14default_configEiN2at4cuda3cub6detail10OpaqueTypeILi1EEEEEPiSC_PSA_SD_jNS1_19radix_merge_compareILb1ELb1EiNS0_19identity_decomposerEEEEEvT0_T1_T2_T3_T4_SL_T5_.has_recursion, 0
	.set _ZN7rocprim17ROCPRIM_304000_NS6detail33device_block_merge_oddeven_kernelINS1_37wrapped_merge_sort_block_merge_configINS0_14default_configEiN2at4cuda3cub6detail10OpaqueTypeILi1EEEEEPiSC_PSA_SD_jNS1_19radix_merge_compareILb1ELb1EiNS0_19identity_decomposerEEEEEvT0_T1_T2_T3_T4_SL_T5_.has_indirect_call, 0
	.section	.AMDGPU.csdata,"",@progbits
; Kernel info:
; codeLenInByte = 716
; TotalNumSgprs: 28
; NumVgprs: 11
; NumAgprs: 0
; TotalNumVgprs: 11
; ScratchSize: 0
; MemoryBound: 0
; FloatMode: 240
; IeeeMode: 1
; LDSByteSize: 0 bytes/workgroup (compile time only)
; SGPRBlocks: 3
; VGPRBlocks: 1
; NumSGPRsForWavesPerEU: 28
; NumVGPRsForWavesPerEU: 11
; AccumOffset: 12
; Occupancy: 8
; WaveLimiterHint : 0
; COMPUTE_PGM_RSRC2:SCRATCH_EN: 0
; COMPUTE_PGM_RSRC2:USER_SGPR: 2
; COMPUTE_PGM_RSRC2:TRAP_HANDLER: 0
; COMPUTE_PGM_RSRC2:TGID_X_EN: 1
; COMPUTE_PGM_RSRC2:TGID_Y_EN: 0
; COMPUTE_PGM_RSRC2:TGID_Z_EN: 0
; COMPUTE_PGM_RSRC2:TIDIG_COMP_CNT: 0
; COMPUTE_PGM_RSRC3_GFX90A:ACCUM_OFFSET: 2
; COMPUTE_PGM_RSRC3_GFX90A:TG_SPLIT: 0
	.section	.text._ZN7rocprim17ROCPRIM_304000_NS6detail26onesweep_histograms_kernelINS1_34wrapped_radix_sort_onesweep_configINS0_14default_configEiN2at4cuda3cub6detail10OpaqueTypeILi1EEEEELb1EPKimNS0_19identity_decomposerEEEvT1_PT2_SG_SG_T3_jj,"axG",@progbits,_ZN7rocprim17ROCPRIM_304000_NS6detail26onesweep_histograms_kernelINS1_34wrapped_radix_sort_onesweep_configINS0_14default_configEiN2at4cuda3cub6detail10OpaqueTypeILi1EEEEELb1EPKimNS0_19identity_decomposerEEEvT1_PT2_SG_SG_T3_jj,comdat
	.protected	_ZN7rocprim17ROCPRIM_304000_NS6detail26onesweep_histograms_kernelINS1_34wrapped_radix_sort_onesweep_configINS0_14default_configEiN2at4cuda3cub6detail10OpaqueTypeILi1EEEEELb1EPKimNS0_19identity_decomposerEEEvT1_PT2_SG_SG_T3_jj ; -- Begin function _ZN7rocprim17ROCPRIM_304000_NS6detail26onesweep_histograms_kernelINS1_34wrapped_radix_sort_onesweep_configINS0_14default_configEiN2at4cuda3cub6detail10OpaqueTypeILi1EEEEELb1EPKimNS0_19identity_decomposerEEEvT1_PT2_SG_SG_T3_jj
	.globl	_ZN7rocprim17ROCPRIM_304000_NS6detail26onesweep_histograms_kernelINS1_34wrapped_radix_sort_onesweep_configINS0_14default_configEiN2at4cuda3cub6detail10OpaqueTypeILi1EEEEELb1EPKimNS0_19identity_decomposerEEEvT1_PT2_SG_SG_T3_jj
	.p2align	8
	.type	_ZN7rocprim17ROCPRIM_304000_NS6detail26onesweep_histograms_kernelINS1_34wrapped_radix_sort_onesweep_configINS0_14default_configEiN2at4cuda3cub6detail10OpaqueTypeILi1EEEEELb1EPKimNS0_19identity_decomposerEEEvT1_PT2_SG_SG_T3_jj,@function
_ZN7rocprim17ROCPRIM_304000_NS6detail26onesweep_histograms_kernelINS1_34wrapped_radix_sort_onesweep_configINS0_14default_configEiN2at4cuda3cub6detail10OpaqueTypeILi1EEEEELb1EPKimNS0_19identity_decomposerEEEvT1_PT2_SG_SG_T3_jj: ; @_ZN7rocprim17ROCPRIM_304000_NS6detail26onesweep_histograms_kernelINS1_34wrapped_radix_sort_onesweep_configINS0_14default_configEiN2at4cuda3cub6detail10OpaqueTypeILi1EEEEELb1EPKimNS0_19identity_decomposerEEEvT1_PT2_SG_SG_T3_jj
; %bb.0:
	s_load_dwordx8 s[44:51], s[0:1], 0x0
	s_load_dwordx2 s[52:53], s[0:1], 0x24
	v_mov_b32_e32 v4, s2
	v_mov_b32_e32 v5, 0
	s_mul_hi_u32 s0, s2, 0x5800
	s_mulk_i32 s2, 0x5800
	s_waitcnt lgkmcnt(0)
	v_cmp_le_u64_e32 vcc, s[50:51], v[4:5]
	s_add_u32 s54, s44, s2
	s_addc_u32 s55, s45, s0
	s_mov_b64 s[0:1], -1
	v_lshlrev_b32_e32 v2, 2, v0
	s_cbranch_vccz .LBB10_142
; %bb.1:
	s_mul_i32 s33, s50, 0xffffea00
	s_add_i32 s33, s33, s48
	v_lshlrev_b32_e32 v4, 2, v0
	v_lshl_add_u64 v[6:7], s[54:55], 0, v[4:5]
	v_cmp_gt_u32_e64 s[44:45], s33, v0
                                        ; implicit-def: $vgpr26
	s_and_saveexec_b64 s[0:1], s[44:45]
	s_cbranch_execz .LBB10_3
; %bb.2:
	global_load_dword v1, v[6:7], off
	s_waitcnt vmcnt(0)
	v_xor_b32_e32 v26, 0x7fffffff, v1
.LBB10_3:
	s_or_b64 exec, exec, s[0:1]
	v_or_b32_e32 v1, 0x100, v0
	v_cmp_gt_u32_e64 s[42:43], s33, v1
                                        ; implicit-def: $vgpr25
	s_and_saveexec_b64 s[0:1], s[42:43]
	s_cbranch_execz .LBB10_5
; %bb.4:
	global_load_dword v1, v[6:7], off offset:1024
	s_waitcnt vmcnt(0)
	v_xor_b32_e32 v25, 0x7fffffff, v1
.LBB10_5:
	s_or_b64 exec, exec, s[0:1]
	v_or_b32_e32 v1, 0x200, v0
	v_cmp_gt_u32_e64 s[40:41], s33, v1
                                        ; implicit-def: $vgpr24
	s_and_saveexec_b64 s[0:1], s[40:41]
	s_cbranch_execz .LBB10_7
; %bb.6:
	global_load_dword v1, v[6:7], off offset:2048
	s_waitcnt vmcnt(0)
	v_xor_b32_e32 v24, 0x7fffffff, v1
.LBB10_7:
	s_or_b64 exec, exec, s[0:1]
	v_or_b32_e32 v1, 0x300, v0
	v_cmp_gt_u32_e64 s[38:39], s33, v1
                                        ; implicit-def: $vgpr23
	s_and_saveexec_b64 s[0:1], s[38:39]
	s_cbranch_execz .LBB10_9
; %bb.8:
	global_load_dword v1, v[6:7], off offset:3072
	s_waitcnt vmcnt(0)
	v_xor_b32_e32 v23, 0x7fffffff, v1
.LBB10_9:
	s_or_b64 exec, exec, s[0:1]
	v_or_b32_e32 v1, 0x400, v0
	v_cmp_gt_u32_e64 s[36:37], s33, v1
                                        ; implicit-def: $vgpr22
	s_and_saveexec_b64 s[0:1], s[36:37]
	s_cbranch_execz .LBB10_11
; %bb.10:
	v_add_co_u32_e32 v8, vcc, 0x1000, v6
	s_nop 1
	v_addc_co_u32_e32 v9, vcc, 0, v7, vcc
	global_load_dword v1, v[8:9], off
	s_waitcnt vmcnt(0)
	v_xor_b32_e32 v22, 0x7fffffff, v1
.LBB10_11:
	s_or_b64 exec, exec, s[0:1]
	v_or_b32_e32 v1, 0x500, v0
	v_cmp_gt_u32_e64 s[34:35], s33, v1
                                        ; implicit-def: $vgpr21
	s_and_saveexec_b64 s[0:1], s[34:35]
	s_cbranch_execz .LBB10_13
; %bb.12:
	v_add_co_u32_e32 v8, vcc, 0x1000, v6
	s_nop 1
	v_addc_co_u32_e32 v9, vcc, 0, v7, vcc
	global_load_dword v1, v[8:9], off offset:1024
	s_waitcnt vmcnt(0)
	v_xor_b32_e32 v21, 0x7fffffff, v1
.LBB10_13:
	s_or_b64 exec, exec, s[0:1]
	v_or_b32_e32 v1, 0x600, v0
	v_cmp_gt_u32_e64 s[30:31], s33, v1
                                        ; implicit-def: $vgpr20
	s_and_saveexec_b64 s[0:1], s[30:31]
	s_cbranch_execz .LBB10_15
; %bb.14:
	v_add_co_u32_e32 v8, vcc, 0x1000, v6
	s_nop 1
	v_addc_co_u32_e32 v9, vcc, 0, v7, vcc
	global_load_dword v1, v[8:9], off offset:2048
	s_waitcnt vmcnt(0)
	v_xor_b32_e32 v20, 0x7fffffff, v1
.LBB10_15:
	s_or_b64 exec, exec, s[0:1]
	v_or_b32_e32 v1, 0x700, v0
	v_cmp_gt_u32_e64 s[28:29], s33, v1
                                        ; implicit-def: $vgpr19
	s_and_saveexec_b64 s[0:1], s[28:29]
	s_cbranch_execz .LBB10_17
; %bb.16:
	v_add_co_u32_e32 v8, vcc, 0x1000, v6
	s_nop 1
	v_addc_co_u32_e32 v9, vcc, 0, v7, vcc
	global_load_dword v1, v[8:9], off offset:3072
	s_waitcnt vmcnt(0)
	v_xor_b32_e32 v19, 0x7fffffff, v1
.LBB10_17:
	s_or_b64 exec, exec, s[0:1]
	v_or_b32_e32 v1, 0x800, v0
	v_cmp_gt_u32_e64 s[26:27], s33, v1
                                        ; implicit-def: $vgpr18
	s_and_saveexec_b64 s[0:1], s[26:27]
	s_cbranch_execz .LBB10_19
; %bb.18:
	v_add_co_u32_e32 v8, vcc, 0x2000, v6
	s_nop 1
	v_addc_co_u32_e32 v9, vcc, 0, v7, vcc
	global_load_dword v1, v[8:9], off
	s_waitcnt vmcnt(0)
	v_xor_b32_e32 v18, 0x7fffffff, v1
.LBB10_19:
	s_or_b64 exec, exec, s[0:1]
	v_or_b32_e32 v1, 0x900, v0
	v_cmp_gt_u32_e64 s[24:25], s33, v1
                                        ; implicit-def: $vgpr17
	s_and_saveexec_b64 s[0:1], s[24:25]
	s_cbranch_execz .LBB10_21
; %bb.20:
	v_add_co_u32_e32 v8, vcc, 0x2000, v6
	s_nop 1
	v_addc_co_u32_e32 v9, vcc, 0, v7, vcc
	global_load_dword v1, v[8:9], off offset:1024
	s_waitcnt vmcnt(0)
	v_xor_b32_e32 v17, 0x7fffffff, v1
.LBB10_21:
	s_or_b64 exec, exec, s[0:1]
	v_or_b32_e32 v1, 0xa00, v0
	v_cmp_gt_u32_e64 s[22:23], s33, v1
                                        ; implicit-def: $vgpr16
	s_and_saveexec_b64 s[0:1], s[22:23]
	s_cbranch_execz .LBB10_23
; %bb.22:
	v_add_co_u32_e32 v8, vcc, 0x2000, v6
	s_nop 1
	v_addc_co_u32_e32 v9, vcc, 0, v7, vcc
	global_load_dword v1, v[8:9], off offset:2048
	s_waitcnt vmcnt(0)
	v_xor_b32_e32 v16, 0x7fffffff, v1
.LBB10_23:
	s_or_b64 exec, exec, s[0:1]
	v_or_b32_e32 v1, 0xb00, v0
	v_cmp_gt_u32_e64 s[20:21], s33, v1
                                        ; implicit-def: $vgpr15
	s_and_saveexec_b64 s[0:1], s[20:21]
	s_cbranch_execz .LBB10_25
; %bb.24:
	v_add_co_u32_e32 v8, vcc, 0x2000, v6
	s_nop 1
	v_addc_co_u32_e32 v9, vcc, 0, v7, vcc
	global_load_dword v1, v[8:9], off offset:3072
	s_waitcnt vmcnt(0)
	v_xor_b32_e32 v15, 0x7fffffff, v1
.LBB10_25:
	s_or_b64 exec, exec, s[0:1]
	v_or_b32_e32 v1, 0xc00, v0
	v_cmp_gt_u32_e64 s[18:19], s33, v1
                                        ; implicit-def: $vgpr14
	s_and_saveexec_b64 s[0:1], s[18:19]
	s_cbranch_execz .LBB10_27
; %bb.26:
	v_add_co_u32_e32 v8, vcc, 0x3000, v6
	s_nop 1
	v_addc_co_u32_e32 v9, vcc, 0, v7, vcc
	global_load_dword v1, v[8:9], off
	s_waitcnt vmcnt(0)
	v_xor_b32_e32 v14, 0x7fffffff, v1
.LBB10_27:
	s_or_b64 exec, exec, s[0:1]
	v_or_b32_e32 v1, 0xd00, v0
	v_cmp_gt_u32_e64 s[16:17], s33, v1
                                        ; implicit-def: $vgpr13
	s_and_saveexec_b64 s[0:1], s[16:17]
	s_cbranch_execz .LBB10_29
; %bb.28:
	v_add_co_u32_e32 v8, vcc, 0x3000, v6
	s_nop 1
	v_addc_co_u32_e32 v9, vcc, 0, v7, vcc
	global_load_dword v1, v[8:9], off offset:1024
	s_waitcnt vmcnt(0)
	v_xor_b32_e32 v13, 0x7fffffff, v1
.LBB10_29:
	s_or_b64 exec, exec, s[0:1]
	v_or_b32_e32 v1, 0xe00, v0
	v_cmp_gt_u32_e64 s[14:15], s33, v1
                                        ; implicit-def: $vgpr12
	s_and_saveexec_b64 s[0:1], s[14:15]
	s_cbranch_execz .LBB10_31
; %bb.30:
	v_add_co_u32_e32 v8, vcc, 0x3000, v6
	s_nop 1
	v_addc_co_u32_e32 v9, vcc, 0, v7, vcc
	global_load_dword v1, v[8:9], off offset:2048
	s_waitcnt vmcnt(0)
	v_xor_b32_e32 v12, 0x7fffffff, v1
.LBB10_31:
	s_or_b64 exec, exec, s[0:1]
	v_or_b32_e32 v1, 0xf00, v0
	v_cmp_gt_u32_e64 s[12:13], s33, v1
                                        ; implicit-def: $vgpr11
	s_and_saveexec_b64 s[0:1], s[12:13]
	s_cbranch_execz .LBB10_33
; %bb.32:
	v_add_co_u32_e32 v8, vcc, 0x3000, v6
	s_nop 1
	v_addc_co_u32_e32 v9, vcc, 0, v7, vcc
	global_load_dword v1, v[8:9], off offset:3072
	s_waitcnt vmcnt(0)
	v_xor_b32_e32 v11, 0x7fffffff, v1
.LBB10_33:
	s_or_b64 exec, exec, s[0:1]
	v_or_b32_e32 v1, 0x1000, v0
	v_cmp_gt_u32_e64 s[10:11], s33, v1
                                        ; implicit-def: $vgpr10
	s_and_saveexec_b64 s[0:1], s[10:11]
	s_cbranch_execz .LBB10_35
; %bb.34:
	v_add_co_u32_e32 v8, vcc, 0x4000, v6
	s_nop 1
	v_addc_co_u32_e32 v9, vcc, 0, v7, vcc
	global_load_dword v1, v[8:9], off
	s_waitcnt vmcnt(0)
	v_xor_b32_e32 v10, 0x7fffffff, v1
.LBB10_35:
	s_or_b64 exec, exec, s[0:1]
	v_or_b32_e32 v1, 0x1100, v0
	v_cmp_gt_u32_e64 s[8:9], s33, v1
                                        ; implicit-def: $vgpr9
	s_and_saveexec_b64 s[0:1], s[8:9]
	s_cbranch_execz .LBB10_37
; %bb.36:
	v_add_co_u32_e32 v8, vcc, 0x4000, v6
	s_nop 1
	v_addc_co_u32_e32 v9, vcc, 0, v7, vcc
	global_load_dword v1, v[8:9], off offset:1024
	s_waitcnt vmcnt(0)
	v_xor_b32_e32 v9, 0x7fffffff, v1
.LBB10_37:
	s_or_b64 exec, exec, s[0:1]
	v_or_b32_e32 v1, 0x1200, v0
	v_cmp_gt_u32_e64 s[6:7], s33, v1
                                        ; implicit-def: $vgpr8
	s_and_saveexec_b64 s[0:1], s[6:7]
	s_cbranch_execz .LBB10_39
; %bb.38:
	v_add_co_u32_e32 v28, vcc, 0x4000, v6
	s_nop 1
	v_addc_co_u32_e32 v29, vcc, 0, v7, vcc
	global_load_dword v1, v[28:29], off offset:2048
	s_waitcnt vmcnt(0)
	v_xor_b32_e32 v8, 0x7fffffff, v1
.LBB10_39:
	s_or_b64 exec, exec, s[0:1]
	v_or_b32_e32 v1, 0x1300, v0
	v_cmp_gt_u32_e64 s[4:5], s33, v1
                                        ; implicit-def: $vgpr5
	s_and_saveexec_b64 s[0:1], s[4:5]
	s_cbranch_execz .LBB10_41
; %bb.40:
	v_add_co_u32_e32 v28, vcc, 0x4000, v6
	s_nop 1
	v_addc_co_u32_e32 v29, vcc, 0, v7, vcc
	global_load_dword v1, v[28:29], off offset:3072
	s_waitcnt vmcnt(0)
	v_xor_b32_e32 v5, 0x7fffffff, v1
.LBB10_41:
	s_or_b64 exec, exec, s[0:1]
	v_or_b32_e32 v1, 0x1400, v0
	v_cmp_gt_u32_e64 s[2:3], s33, v1
                                        ; implicit-def: $vgpr3
	s_and_saveexec_b64 s[0:1], s[2:3]
	s_cbranch_execz .LBB10_43
; %bb.42:
	v_add_co_u32_e32 v28, vcc, 0x5000, v6
	s_nop 1
	v_addc_co_u32_e32 v29, vcc, 0, v7, vcc
	global_load_dword v1, v[28:29], off
	s_waitcnt vmcnt(0)
	v_xor_b32_e32 v3, 0x7fffffff, v1
.LBB10_43:
	s_or_b64 exec, exec, s[0:1]
	v_or_b32_e32 v1, 0x1500, v0
	v_cmp_gt_u32_e64 s[0:1], s33, v1
                                        ; implicit-def: $vgpr1
	s_and_saveexec_b64 s[48:49], s[0:1]
	s_cbranch_execz .LBB10_45
; %bb.44:
	v_add_co_u32_e32 v6, vcc, 0x5000, v6
	s_nop 1
	v_addc_co_u32_e32 v7, vcc, 0, v7, vcc
	global_load_dword v1, v[6:7], off offset:1024
	s_waitcnt vmcnt(0)
	v_xor_b32_e32 v1, 0x7fffffff, v1
.LBB10_45:
	s_or_b64 exec, exec, s[48:49]
	v_or_b32_e32 v6, 0xffffff00, v0
	s_mov_b64 s[48:49], 0
	v_mov_b32_e32 v7, 0
	s_movk_i32 s33, 0xeff
.LBB10_46:                              ; =>This Inner Loop Header: Depth=1
	v_add_u32_e32 v6, 0x100, v6
	v_cmp_lt_u32_e32 vcc, s33, v6
	ds_write_b32 v4, v7
	s_or_b64 s[48:49], vcc, s[48:49]
	v_add_u32_e32 v4, 0x400, v4
	s_andn2_b64 exec, exec, s[48:49]
	s_cbranch_execnz .LBB10_46
; %bb.47:
	s_or_b64 exec, exec, s[48:49]
	s_cmp_gt_u32 s53, s52
	s_cselect_b64 s[48:49], -1, 0
	s_cmp_le_u32 s53, s52
	s_waitcnt lgkmcnt(0)
	s_barrier
	s_cbranch_scc1 .LBB10_136
; %bb.48:
	v_and_b32_e32 v4, 3, v0
	v_lshlrev_b32_e32 v4, 2, v4
	s_sub_i32 s33, s53, s52
	v_mov_b32_e32 v6, 1
	s_mov_b32 s56, s33
	v_mov_b32_e32 v7, v4
	s_mov_b32 s57, s52
	s_branch .LBB10_50
.LBB10_49:                              ;   in Loop: Header=BB10_50 Depth=1
	s_or_b64 exec, exec, s[50:51]
	s_add_i32 s57, s57, 8
	s_add_i32 s56, s56, -8
	s_cmp_lt_u32 s57, s53
	v_add_u32_e32 v7, 0x1000, v7
	s_cbranch_scc0 .LBB10_52
.LBB10_50:                              ; =>This Inner Loop Header: Depth=1
	s_and_saveexec_b64 s[50:51], s[44:45]
	s_cbranch_execz .LBB10_49
; %bb.51:                               ;   in Loop: Header=BB10_50 Depth=1
	s_min_u32 s58, s56, 8
	v_lshrrev_b32_e32 v27, s57, v26
	v_bfe_u32 v27, v27, 0, s58
	v_lshl_add_u32 v27, v27, 4, v7
	ds_add_u32 v27, v6
	s_branch .LBB10_49
.LBB10_52:
	v_mov_b32_e32 v6, 1
	s_mov_b32 s50, s33
	v_mov_b32_e32 v7, v4
	s_mov_b32 s51, s52
	s_branch .LBB10_54
.LBB10_53:                              ;   in Loop: Header=BB10_54 Depth=1
	s_or_b64 exec, exec, s[44:45]
	s_add_i32 s51, s51, 8
	s_add_i32 s50, s50, -8
	s_cmp_lt_u32 s51, s53
	v_add_u32_e32 v7, 0x1000, v7
	s_cbranch_scc0 .LBB10_56
.LBB10_54:                              ; =>This Inner Loop Header: Depth=1
	s_and_saveexec_b64 s[44:45], s[42:43]
	s_cbranch_execz .LBB10_53
; %bb.55:                               ;   in Loop: Header=BB10_54 Depth=1
	s_min_u32 s56, s50, 8
	v_lshrrev_b32_e32 v26, s51, v25
	v_bfe_u32 v26, v26, 0, s56
	v_lshl_add_u32 v26, v26, 4, v7
	ds_add_u32 v26, v6
	s_branch .LBB10_53
.LBB10_56:
	;; [unrolled: 23-line block ×13, first 2 shown]
	v_mov_b32_e32 v6, 1
	s_mov_b32 s20, s33
	v_mov_b32_e32 v7, v4
	s_mov_b32 s21, s52
	s_branch .LBB10_102
.LBB10_101:                             ;   in Loop: Header=BB10_102 Depth=1
	s_or_b64 exec, exec, s[18:19]
	s_add_i32 s21, s21, 8
	s_add_i32 s20, s20, -8
	s_cmp_lt_u32 s21, s53
	v_add_u32_e32 v7, 0x1000, v7
	s_cbranch_scc0 .LBB10_104
.LBB10_102:                             ; =>This Inner Loop Header: Depth=1
	s_and_saveexec_b64 s[18:19], s[16:17]
	s_cbranch_execz .LBB10_101
; %bb.103:                              ;   in Loop: Header=BB10_102 Depth=1
	s_min_u32 s22, s20, 8
	v_lshrrev_b32_e32 v14, s21, v13
	v_bfe_u32 v14, v14, 0, s22
	v_lshl_add_u32 v14, v14, 4, v7
	ds_add_u32 v14, v6
	s_branch .LBB10_101
.LBB10_104:
	v_mov_b32_e32 v6, 1
	s_mov_b32 s18, s33
	v_mov_b32_e32 v7, v4
	s_mov_b32 s19, s52
	s_branch .LBB10_106
.LBB10_105:                             ;   in Loop: Header=BB10_106 Depth=1
	s_or_b64 exec, exec, s[16:17]
	s_add_i32 s19, s19, 8
	s_add_i32 s18, s18, -8
	s_cmp_lt_u32 s19, s53
	v_add_u32_e32 v7, 0x1000, v7
	s_cbranch_scc0 .LBB10_108
.LBB10_106:                             ; =>This Inner Loop Header: Depth=1
	s_and_saveexec_b64 s[16:17], s[14:15]
	s_cbranch_execz .LBB10_105
; %bb.107:                              ;   in Loop: Header=BB10_106 Depth=1
	s_min_u32 s20, s18, 8
	v_lshrrev_b32_e32 v13, s19, v12
	v_bfe_u32 v13, v13, 0, s20
	v_lshl_add_u32 v13, v13, 4, v7
	ds_add_u32 v13, v6
	s_branch .LBB10_105
.LBB10_108:
	;; [unrolled: 23-line block ×8, first 2 shown]
	v_mov_b32_e32 v3, 1
	s_mov_b32 s4, s52
	s_branch .LBB10_134
.LBB10_133:                             ;   in Loop: Header=BB10_134 Depth=1
	s_or_b64 exec, exec, s[2:3]
	s_add_i32 s4, s4, 8
	s_add_i32 s33, s33, -8
	s_cmp_lt_u32 s4, s53
	v_add_u32_e32 v4, 0x1000, v4
	s_cbranch_scc0 .LBB10_136
.LBB10_134:                             ; =>This Inner Loop Header: Depth=1
	s_and_saveexec_b64 s[2:3], s[0:1]
	s_cbranch_execz .LBB10_133
; %bb.135:                              ;   in Loop: Header=BB10_134 Depth=1
	s_min_u32 s5, s33, 8
	v_lshrrev_b32_e32 v5, s4, v1
	v_bfe_u32 v5, v5, 0, s5
	v_lshl_add_u32 v5, v5, 4, v4
	ds_add_u32 v5, v3
	s_branch .LBB10_133
.LBB10_136:
	s_and_b64 vcc, exec, s[48:49]
	s_waitcnt lgkmcnt(0)
	s_barrier
	s_cbranch_vccz .LBB10_141
; %bb.137:
	s_movk_i32 s0, 0x100
	v_cmp_gt_u32_e32 vcc, s0, v0
	v_lshlrev_b32_e32 v1, 4, v0
	v_mov_b32_e32 v5, 0
	v_mov_b32_e32 v4, v0
	s_mov_b32 s2, s52
	s_branch .LBB10_139
.LBB10_138:                             ;   in Loop: Header=BB10_139 Depth=1
	s_or_b64 exec, exec, s[0:1]
	s_add_i32 s2, s2, 8
	v_add_u32_e32 v4, 0x100, v4
	s_cmp_lt_u32 s2, s53
	v_add_u32_e32 v1, 0x1000, v1
	s_cbranch_scc0 .LBB10_141
.LBB10_139:                             ; =>This Inner Loop Header: Depth=1
	s_and_saveexec_b64 s[0:1], vcc
	s_cbranch_execz .LBB10_138
; %bb.140:                              ;   in Loop: Header=BB10_139 Depth=1
	ds_read2_b32 v[6:7], v1 offset1:1
	ds_read2_b32 v[8:9], v1 offset0:2 offset1:3
	v_lshl_add_u64 v[10:11], v[4:5], 3, s[46:47]
	s_waitcnt lgkmcnt(1)
	v_add_u32_e32 v3, v7, v6
	s_waitcnt lgkmcnt(0)
	v_add3_u32 v6, v3, v8, v9
	v_mov_b32_e32 v7, v5
	global_atomic_add_x2 v[10:11], v[6:7], off
	s_branch .LBB10_138
.LBB10_141:
	s_mov_b64 s[0:1], 0
.LBB10_142:
	s_and_b64 vcc, exec, s[0:1]
	s_cbranch_vccz .LBB10_202
; %bb.143:
	v_mov_b32_e32 v3, 0
	v_lshl_add_u64 v[20:21], s[54:55], 0, v[2:3]
	v_add_co_u32_e32 v12, vcc, 0x1000, v20
	s_cmp_eq_u32 s52, 0
	s_nop 0
	v_addc_co_u32_e32 v13, vcc, 0, v21, vcc
	v_add_co_u32_e32 v14, vcc, 0x2000, v20
	s_cselect_b64 s[0:1], -1, 0
	s_nop 0
	v_addc_co_u32_e32 v15, vcc, 0, v21, vcc
	v_add_co_u32_e32 v22, vcc, 0x3000, v20
	global_load_dword v1, v[12:13], off
	global_load_dword v4, v[12:13], off offset:1024
	global_load_dword v5, v[12:13], off offset:2048
	;; [unrolled: 1-line block ×3, first 2 shown]
	global_load_dword v7, v[14:15], off
	global_load_dword v8, v[14:15], off offset:1024
	global_load_dword v9, v[14:15], off offset:2048
	global_load_dword v10, v[14:15], off offset:3072
	v_addc_co_u32_e32 v23, vcc, 0, v21, vcc
	v_add_co_u32_e32 v24, vcc, 0x4000, v20
	s_cmp_eq_u32 s53, 32
	s_nop 0
	v_addc_co_u32_e32 v25, vcc, 0, v21, vcc
	global_load_dword v11, v[22:23], off
	global_load_dword v12, v[22:23], off offset:1024
	global_load_dword v13, v[22:23], off offset:2048
	global_load_dword v14, v[22:23], off offset:3072
	global_load_dword v15, v[24:25], off
	global_load_dword v16, v[24:25], off offset:1024
	global_load_dword v17, v[24:25], off offset:2048
	;; [unrolled: 1-line block ×3, first 2 shown]
	v_add_co_u32_e32 v26, vcc, 0x5000, v20
	s_cselect_b64 s[2:3], -1, 0
	s_nop 0
	v_addc_co_u32_e32 v27, vcc, 0, v21, vcc
	global_load_dword v21, v2, s[54:55]
	global_load_dword v22, v2, s[54:55] offset:1024
	global_load_dword v23, v2, s[54:55] offset:2048
	;; [unrolled: 1-line block ×3, first 2 shown]
	global_load_dword v19, v[26:27], off
	global_load_dword v20, v[26:27], off offset:1024
	s_and_b64 s[2:3], s[0:1], s[2:3]
	s_mov_b64 s[0:1], -1
	s_and_b64 vcc, exec, s[2:3]
	s_cbranch_vccnz .LBB10_197
; %bb.144:
	v_or_b32_e32 v25, 0xffffff00, v0
	s_mov_b64 s[0:1], 0
	s_movk_i32 s2, 0xeff
.LBB10_145:                             ; =>This Inner Loop Header: Depth=1
	v_add_u32_e32 v25, 0x100, v25
	v_cmp_lt_u32_e32 vcc, s2, v25
	ds_write_b32 v2, v3
	s_or_b64 s[0:1], vcc, s[0:1]
	v_add_u32_e32 v2, 0x400, v2
	s_andn2_b64 exec, exec, s[0:1]
	s_cbranch_execnz .LBB10_145
; %bb.146:
	s_or_b64 exec, exec, s[0:1]
	s_cmp_gt_u32 s53, s52
	s_cselect_b64 s[0:1], -1, 0
	s_cmp_le_u32 s53, s52
	s_waitcnt lgkmcnt(0)
	s_barrier
	s_cbranch_scc1 .LBB10_191
; %bb.147:
	v_and_b32_e32 v2, 3, v0
	v_lshlrev_b32_e32 v2, 2, v2
	s_sub_i32 s2, s53, s52
	s_waitcnt vmcnt(5)
	v_xor_b32_e32 v3, 0x7fffffff, v21
	v_mov_b32_e32 v25, 1
	s_mov_b32 s3, s2
	v_mov_b32_e32 v26, v2
	s_mov_b32 s4, s52
.LBB10_148:                             ; =>This Inner Loop Header: Depth=1
	s_min_u32 s5, s3, 8
	v_lshrrev_b32_e32 v27, s4, v3
	v_bfe_u32 v27, v27, 0, s5
	v_lshl_add_u32 v27, v27, 4, v26
	ds_add_u32 v27, v25
	s_add_i32 s4, s4, 8
	s_add_i32 s3, s3, -8
	s_cmp_lt_u32 s4, s53
	v_add_u32_e32 v26, 0x1000, v26
	s_cbranch_scc1 .LBB10_148
; %bb.149:
	s_waitcnt vmcnt(4)
	v_xor_b32_e32 v3, 0x7fffffff, v22
	v_mov_b32_e32 v25, 1
	s_mov_b32 s3, s2
	v_mov_b32_e32 v26, v2
	s_mov_b32 s4, s52
.LBB10_150:                             ; =>This Inner Loop Header: Depth=1
	s_min_u32 s5, s3, 8
	v_lshrrev_b32_e32 v27, s4, v3
	v_bfe_u32 v27, v27, 0, s5
	v_lshl_add_u32 v27, v27, 4, v26
	ds_add_u32 v27, v25
	s_add_i32 s4, s4, 8
	s_add_i32 s3, s3, -8
	s_cmp_lt_u32 s4, s53
	v_add_u32_e32 v26, 0x1000, v26
	s_cbranch_scc1 .LBB10_150
; %bb.151:
	;; [unrolled: 18-line block ×4, first 2 shown]
	v_xor_b32_e32 v3, 0x7fffffff, v1
	v_mov_b32_e32 v25, 1
	s_mov_b32 s3, s2
	v_mov_b32_e32 v26, v2
	s_mov_b32 s4, s52
.LBB10_156:                             ; =>This Inner Loop Header: Depth=1
	s_min_u32 s5, s3, 8
	v_lshrrev_b32_e32 v27, s4, v3
	v_bfe_u32 v27, v27, 0, s5
	v_lshl_add_u32 v27, v27, 4, v26
	ds_add_u32 v27, v25
	s_add_i32 s4, s4, 8
	s_add_i32 s3, s3, -8
	s_cmp_lt_u32 s4, s53
	v_add_u32_e32 v26, 0x1000, v26
	s_cbranch_scc1 .LBB10_156
; %bb.157:
	v_xor_b32_e32 v3, 0x7fffffff, v4
	v_mov_b32_e32 v25, 1
	s_mov_b32 s3, s2
	v_mov_b32_e32 v26, v2
	s_mov_b32 s4, s52
.LBB10_158:                             ; =>This Inner Loop Header: Depth=1
	s_min_u32 s5, s3, 8
	v_lshrrev_b32_e32 v27, s4, v3
	v_bfe_u32 v27, v27, 0, s5
	v_lshl_add_u32 v27, v27, 4, v26
	ds_add_u32 v27, v25
	s_add_i32 s4, s4, 8
	s_add_i32 s3, s3, -8
	s_cmp_lt_u32 s4, s53
	v_add_u32_e32 v26, 0x1000, v26
	s_cbranch_scc1 .LBB10_158
; %bb.159:
	;; [unrolled: 17-line block ×16, first 2 shown]
	s_waitcnt vmcnt(1)
	v_xor_b32_e32 v3, 0x7fffffff, v19
	v_mov_b32_e32 v25, 1
	s_mov_b32 s3, s2
	v_mov_b32_e32 v26, v2
	s_mov_b32 s4, s52
.LBB10_188:                             ; =>This Inner Loop Header: Depth=1
	s_min_u32 s5, s3, 8
	v_lshrrev_b32_e32 v27, s4, v3
	v_bfe_u32 v27, v27, 0, s5
	v_lshl_add_u32 v27, v27, 4, v26
	ds_add_u32 v27, v25
	s_add_i32 s4, s4, 8
	s_add_i32 s3, s3, -8
	s_cmp_lt_u32 s4, s53
	v_add_u32_e32 v26, 0x1000, v26
	s_cbranch_scc1 .LBB10_188
; %bb.189:
	s_waitcnt vmcnt(0)
	v_xor_b32_e32 v3, 0x7fffffff, v20
	v_mov_b32_e32 v25, 1
	s_mov_b32 s3, s52
.LBB10_190:                             ; =>This Inner Loop Header: Depth=1
	s_min_u32 s4, s2, 8
	v_lshrrev_b32_e32 v26, s3, v3
	v_bfe_u32 v26, v26, 0, s4
	v_lshl_add_u32 v26, v26, 4, v2
	ds_add_u32 v26, v25
	s_add_i32 s3, s3, 8
	s_add_i32 s2, s2, -8
	s_cmp_lt_u32 s3, s53
	v_add_u32_e32 v2, 0x1000, v2
	s_cbranch_scc1 .LBB10_190
.LBB10_191:
	s_and_b64 vcc, exec, s[0:1]
	s_waitcnt lgkmcnt(0)
	s_barrier
	s_cbranch_vccz .LBB10_196
; %bb.192:
	s_movk_i32 s0, 0x100
	v_cmp_gt_u32_e32 vcc, s0, v0
	v_lshlrev_b32_e32 v25, 4, v0
	v_mov_b32_e32 v3, 0
	v_mov_b32_e32 v2, v0
	s_branch .LBB10_194
.LBB10_193:                             ;   in Loop: Header=BB10_194 Depth=1
	s_or_b64 exec, exec, s[0:1]
	s_add_i32 s52, s52, 8
	v_add_u32_e32 v2, 0x100, v2
	s_cmp_ge_u32 s52, s53
	v_add_u32_e32 v25, 0x1000, v25
	s_cbranch_scc1 .LBB10_196
.LBB10_194:                             ; =>This Inner Loop Header: Depth=1
	s_and_saveexec_b64 s[0:1], vcc
	s_cbranch_execz .LBB10_193
; %bb.195:                              ;   in Loop: Header=BB10_194 Depth=1
	ds_read2_b32 v[26:27], v25 offset1:1
	ds_read2_b32 v[28:29], v25 offset0:2 offset1:3
	v_lshl_add_u64 v[30:31], v[2:3], 3, s[46:47]
	s_waitcnt lgkmcnt(1)
	v_add_u32_e32 v26, v27, v26
	s_waitcnt lgkmcnt(0)
	v_add3_u32 v26, v26, v28, v29
	v_mov_b32_e32 v27, v3
	global_atomic_add_x2 v[30:31], v[26:27], off
	s_branch .LBB10_193
.LBB10_196:
	s_mov_b64 s[0:1], 0
.LBB10_197:
	s_and_b64 vcc, exec, s[0:1]
	s_cbranch_vccz .LBB10_202
; %bb.198:
	v_or_b32_e32 v2, 0xffffff00, v0
	v_lshlrev_b32_e32 v3, 2, v0
	s_mov_b64 s[0:1], 0
	v_mov_b32_e32 v25, 0
	s_movk_i32 s2, 0xeff
.LBB10_199:                             ; =>This Inner Loop Header: Depth=1
	v_add_u32_e32 v2, 0x100, v2
	v_cmp_lt_u32_e32 vcc, s2, v2
	ds_write_b32 v3, v25
	s_or_b64 s[0:1], vcc, s[0:1]
	v_add_u32_e32 v3, 0x400, v3
	s_andn2_b64 exec, exec, s[0:1]
	s_cbranch_execnz .LBB10_199
; %bb.200:
	s_or_b64 exec, exec, s[0:1]
	s_waitcnt vmcnt(5)
	v_xor_b32_e32 v2, 0x7fffffff, v21
	s_waitcnt vmcnt(3)
	v_xor_b32_e32 v21, 0x7fffffff, v23
	v_and_b32_e32 v23, 3, v0
	v_xor_b32_e32 v3, 0x7fffffff, v22
	s_waitcnt vmcnt(2)
	v_xor_b32_e32 v22, 0x7fffffff, v24
	v_lshlrev_b32_e32 v24, 4, v2
	v_lshlrev_b32_e32 v23, 2, v23
	s_movk_i32 s0, 0xff0
	v_and_or_b32 v24, v24, s0, v23
	v_mov_b32_e32 v25, 1
	s_waitcnt lgkmcnt(0)
	s_barrier
	ds_add_u32 v24, v25
	v_bfe_u32 v24, v2, 8, 8
	v_lshl_or_b32 v24, v24, 4, v23
	ds_add_u32 v24, v25 offset:4096
	v_bfe_u32 v24, v2, 16, 8
	v_lshl_or_b32 v24, v24, 4, v23
	v_lshrrev_b32_e32 v2, 24, v2
	ds_add_u32 v24, v25 offset:8192
	v_lshl_or_b32 v2, v2, 4, v23
	ds_add_u32 v2, v25 offset:12288
	v_lshlrev_b32_e32 v2, 4, v3
	v_and_or_b32 v2, v2, s0, v23
	ds_add_u32 v2, v25
	v_bfe_u32 v2, v3, 8, 8
	v_lshl_or_b32 v2, v2, 4, v23
	ds_add_u32 v2, v25 offset:4096
	v_bfe_u32 v2, v3, 16, 8
	v_lshl_or_b32 v2, v2, 4, v23
	ds_add_u32 v2, v25 offset:8192
	v_lshrrev_b32_e32 v2, 24, v3
	v_lshl_or_b32 v2, v2, 4, v23
	ds_add_u32 v2, v25 offset:12288
	v_lshlrev_b32_e32 v2, 4, v21
	v_and_or_b32 v2, v2, s0, v23
	ds_add_u32 v2, v25
	v_bfe_u32 v2, v21, 8, 8
	v_lshl_or_b32 v2, v2, 4, v23
	ds_add_u32 v2, v25 offset:4096
	v_bfe_u32 v2, v21, 16, 8
	v_lshl_or_b32 v2, v2, 4, v23
	ds_add_u32 v2, v25 offset:8192
	v_lshrrev_b32_e32 v2, 24, v21
	;; [unrolled: 12-line block ×3, first 2 shown]
	v_xor_b32_e32 v1, 0x7fffffff, v1
	v_lshl_or_b32 v2, v2, 4, v23
	ds_add_u32 v2, v25 offset:12288
	v_lshlrev_b32_e32 v2, 4, v1
	v_and_or_b32 v2, v2, s0, v23
	ds_add_u32 v2, v25
	v_bfe_u32 v2, v1, 8, 8
	v_lshl_or_b32 v2, v2, 4, v23
	ds_add_u32 v2, v25 offset:4096
	v_bfe_u32 v2, v1, 16, 8
	v_lshl_or_b32 v2, v2, 4, v23
	v_lshrrev_b32_e32 v1, 24, v1
	v_xor_b32_e32 v4, 0x7fffffff, v4
	ds_add_u32 v2, v25 offset:8192
	v_lshl_or_b32 v1, v1, 4, v23
	ds_add_u32 v1, v25 offset:12288
	v_lshlrev_b32_e32 v1, 4, v4
	v_and_or_b32 v1, v1, s0, v23
	ds_add_u32 v1, v25
	v_bfe_u32 v1, v4, 8, 8
	v_lshl_or_b32 v1, v1, 4, v23
	ds_add_u32 v1, v25 offset:4096
	v_bfe_u32 v1, v4, 16, 8
	v_lshl_or_b32 v1, v1, 4, v23
	ds_add_u32 v1, v25 offset:8192
	v_lshrrev_b32_e32 v1, 24, v4
	v_xor_b32_e32 v5, 0x7fffffff, v5
	v_lshl_or_b32 v1, v1, 4, v23
	ds_add_u32 v1, v25 offset:12288
	v_lshlrev_b32_e32 v1, 4, v5
	v_and_or_b32 v1, v1, s0, v23
	ds_add_u32 v1, v25
	v_bfe_u32 v1, v5, 8, 8
	v_lshl_or_b32 v1, v1, 4, v23
	ds_add_u32 v1, v25 offset:4096
	v_bfe_u32 v1, v5, 16, 8
	v_lshl_or_b32 v1, v1, 4, v23
	ds_add_u32 v1, v25 offset:8192
	v_lshrrev_b32_e32 v1, 24, v5
	v_xor_b32_e32 v6, 0x7fffffff, v6
	;; [unrolled: 13-line block ×14, first 2 shown]
	v_lshl_or_b32 v1, v1, 4, v23
	ds_add_u32 v1, v25 offset:12288
	v_lshlrev_b32_e32 v1, 4, v18
	v_and_or_b32 v1, v1, s0, v23
	ds_add_u32 v1, v25
	v_bfe_u32 v1, v18, 8, 8
	v_lshl_or_b32 v1, v1, 4, v23
	ds_add_u32 v1, v25 offset:4096
	v_bfe_u32 v1, v18, 16, 8
	v_lshl_or_b32 v1, v1, 4, v23
	ds_add_u32 v1, v25 offset:8192
	v_lshrrev_b32_e32 v1, 24, v18
	s_waitcnt vmcnt(1)
	v_xor_b32_e32 v19, 0x7fffffff, v19
	v_lshl_or_b32 v1, v1, 4, v23
	ds_add_u32 v1, v25 offset:12288
	v_lshlrev_b32_e32 v1, 4, v19
	v_and_or_b32 v1, v1, s0, v23
	ds_add_u32 v1, v25
	v_bfe_u32 v1, v19, 8, 8
	v_lshl_or_b32 v1, v1, 4, v23
	ds_add_u32 v1, v25 offset:4096
	v_bfe_u32 v1, v19, 16, 8
	v_lshl_or_b32 v1, v1, 4, v23
	ds_add_u32 v1, v25 offset:8192
	v_lshrrev_b32_e32 v1, 24, v19
	s_waitcnt vmcnt(0)
	v_xor_b32_e32 v20, 0x7fffffff, v20
	v_lshl_or_b32 v1, v1, 4, v23
	ds_add_u32 v1, v25 offset:12288
	v_lshlrev_b32_e32 v1, 4, v20
	v_and_or_b32 v1, v1, s0, v23
	ds_add_u32 v1, v25
	v_bfe_u32 v1, v20, 8, 8
	v_lshl_or_b32 v1, v1, 4, v23
	ds_add_u32 v1, v25 offset:4096
	v_bfe_u32 v1, v20, 16, 8
	v_lshl_or_b32 v1, v1, 4, v23
	ds_add_u32 v1, v25 offset:8192
	v_lshrrev_b32_e32 v1, 24, v20
	v_lshl_or_b32 v1, v1, 4, v23
	ds_add_u32 v1, v25 offset:12288
	s_movk_i32 s0, 0x100
	v_cmp_gt_u32_e32 vcc, s0, v0
	s_waitcnt lgkmcnt(0)
	s_barrier
	s_and_saveexec_b64 s[0:1], vcc
	s_cbranch_execz .LBB10_202
; %bb.201:
	v_lshlrev_b32_e32 v8, 4, v0
	ds_read2_b32 v[2:3], v8 offset1:1
	ds_read2_b32 v[4:5], v8 offset0:2 offset1:3
	v_mov_b32_e32 v1, 0
	v_lshlrev_b32_e32 v0, 3, v0
	v_mov_b32_e32 v7, v1
	s_waitcnt lgkmcnt(1)
	v_add_u32_e32 v2, v3, v2
	s_waitcnt lgkmcnt(0)
	v_add3_u32 v6, v2, v4, v5
	global_atomic_add_x2 v0, v[6:7], s[46:47]
	v_or_b32_e32 v2, 0x1000, v8
	v_or_b32_e32 v4, 0x1008, v8
	ds_read2_b32 v[2:3], v2 offset1:1
	ds_read2_b32 v[4:5], v4 offset1:1
	s_movk_i32 s0, 0x1000
	s_waitcnt lgkmcnt(1)
	v_add_u32_e32 v2, v3, v2
	s_waitcnt lgkmcnt(0)
	v_add3_u32 v6, v2, v4, v5
	global_atomic_add_x2 v0, v[6:7], s[46:47] offset:2048
	v_or_b32_e32 v2, 0x2000, v8
	v_or_b32_e32 v4, 0x2008, v8
	ds_read2_b32 v[2:3], v2 offset1:1
	ds_read2_b32 v[4:5], v4 offset1:1
	v_lshl_add_u64 v[6:7], s[46:47], 0, v[0:1]
	s_waitcnt lgkmcnt(1)
	v_add_u32_e32 v0, v3, v2
	v_add_co_u32_e32 v2, vcc, s0, v6
	s_waitcnt lgkmcnt(0)
	v_add3_u32 v0, v0, v4, v5
	v_addc_co_u32_e32 v3, vcc, 0, v7, vcc
	global_atomic_add_x2 v[2:3], v[0:1], off
	v_or_b32_e32 v0, 0x3000, v8
	v_or_b32_e32 v6, 0x3008, v8
	ds_read2_b32 v[4:5], v0 offset1:1
	ds_read2_b32 v[6:7], v6 offset1:1
	s_waitcnt lgkmcnt(1)
	v_add_u32_e32 v0, v5, v4
	s_waitcnt lgkmcnt(0)
	v_add3_u32 v0, v0, v6, v7
	global_atomic_add_x2 v[2:3], v[0:1], off offset:2048
.LBB10_202:
	s_endpgm
	.section	.rodata,"a",@progbits
	.p2align	6, 0x0
	.amdhsa_kernel _ZN7rocprim17ROCPRIM_304000_NS6detail26onesweep_histograms_kernelINS1_34wrapped_radix_sort_onesweep_configINS0_14default_configEiN2at4cuda3cub6detail10OpaqueTypeILi1EEEEELb1EPKimNS0_19identity_decomposerEEEvT1_PT2_SG_SG_T3_jj
		.amdhsa_group_segment_fixed_size 16384
		.amdhsa_private_segment_fixed_size 0
		.amdhsa_kernarg_size 44
		.amdhsa_user_sgpr_count 2
		.amdhsa_user_sgpr_dispatch_ptr 0
		.amdhsa_user_sgpr_queue_ptr 0
		.amdhsa_user_sgpr_kernarg_segment_ptr 1
		.amdhsa_user_sgpr_dispatch_id 0
		.amdhsa_user_sgpr_kernarg_preload_length 0
		.amdhsa_user_sgpr_kernarg_preload_offset 0
		.amdhsa_user_sgpr_private_segment_size 0
		.amdhsa_uses_dynamic_stack 0
		.amdhsa_enable_private_segment 0
		.amdhsa_system_sgpr_workgroup_id_x 1
		.amdhsa_system_sgpr_workgroup_id_y 0
		.amdhsa_system_sgpr_workgroup_id_z 0
		.amdhsa_system_sgpr_workgroup_info 0
		.amdhsa_system_vgpr_workitem_id 0
		.amdhsa_next_free_vgpr 32
		.amdhsa_next_free_sgpr 59
		.amdhsa_accum_offset 32
		.amdhsa_reserve_vcc 1
		.amdhsa_float_round_mode_32 0
		.amdhsa_float_round_mode_16_64 0
		.amdhsa_float_denorm_mode_32 3
		.amdhsa_float_denorm_mode_16_64 3
		.amdhsa_dx10_clamp 1
		.amdhsa_ieee_mode 1
		.amdhsa_fp16_overflow 0
		.amdhsa_tg_split 0
		.amdhsa_exception_fp_ieee_invalid_op 0
		.amdhsa_exception_fp_denorm_src 0
		.amdhsa_exception_fp_ieee_div_zero 0
		.amdhsa_exception_fp_ieee_overflow 0
		.amdhsa_exception_fp_ieee_underflow 0
		.amdhsa_exception_fp_ieee_inexact 0
		.amdhsa_exception_int_div_zero 0
	.end_amdhsa_kernel
	.section	.text._ZN7rocprim17ROCPRIM_304000_NS6detail26onesweep_histograms_kernelINS1_34wrapped_radix_sort_onesweep_configINS0_14default_configEiN2at4cuda3cub6detail10OpaqueTypeILi1EEEEELb1EPKimNS0_19identity_decomposerEEEvT1_PT2_SG_SG_T3_jj,"axG",@progbits,_ZN7rocprim17ROCPRIM_304000_NS6detail26onesweep_histograms_kernelINS1_34wrapped_radix_sort_onesweep_configINS0_14default_configEiN2at4cuda3cub6detail10OpaqueTypeILi1EEEEELb1EPKimNS0_19identity_decomposerEEEvT1_PT2_SG_SG_T3_jj,comdat
.Lfunc_end10:
	.size	_ZN7rocprim17ROCPRIM_304000_NS6detail26onesweep_histograms_kernelINS1_34wrapped_radix_sort_onesweep_configINS0_14default_configEiN2at4cuda3cub6detail10OpaqueTypeILi1EEEEELb1EPKimNS0_19identity_decomposerEEEvT1_PT2_SG_SG_T3_jj, .Lfunc_end10-_ZN7rocprim17ROCPRIM_304000_NS6detail26onesweep_histograms_kernelINS1_34wrapped_radix_sort_onesweep_configINS0_14default_configEiN2at4cuda3cub6detail10OpaqueTypeILi1EEEEELb1EPKimNS0_19identity_decomposerEEEvT1_PT2_SG_SG_T3_jj
                                        ; -- End function
	.set _ZN7rocprim17ROCPRIM_304000_NS6detail26onesweep_histograms_kernelINS1_34wrapped_radix_sort_onesweep_configINS0_14default_configEiN2at4cuda3cub6detail10OpaqueTypeILi1EEEEELb1EPKimNS0_19identity_decomposerEEEvT1_PT2_SG_SG_T3_jj.num_vgpr, 32
	.set _ZN7rocprim17ROCPRIM_304000_NS6detail26onesweep_histograms_kernelINS1_34wrapped_radix_sort_onesweep_configINS0_14default_configEiN2at4cuda3cub6detail10OpaqueTypeILi1EEEEELb1EPKimNS0_19identity_decomposerEEEvT1_PT2_SG_SG_T3_jj.num_agpr, 0
	.set _ZN7rocprim17ROCPRIM_304000_NS6detail26onesweep_histograms_kernelINS1_34wrapped_radix_sort_onesweep_configINS0_14default_configEiN2at4cuda3cub6detail10OpaqueTypeILi1EEEEELb1EPKimNS0_19identity_decomposerEEEvT1_PT2_SG_SG_T3_jj.numbered_sgpr, 59
	.set _ZN7rocprim17ROCPRIM_304000_NS6detail26onesweep_histograms_kernelINS1_34wrapped_radix_sort_onesweep_configINS0_14default_configEiN2at4cuda3cub6detail10OpaqueTypeILi1EEEEELb1EPKimNS0_19identity_decomposerEEEvT1_PT2_SG_SG_T3_jj.num_named_barrier, 0
	.set _ZN7rocprim17ROCPRIM_304000_NS6detail26onesweep_histograms_kernelINS1_34wrapped_radix_sort_onesweep_configINS0_14default_configEiN2at4cuda3cub6detail10OpaqueTypeILi1EEEEELb1EPKimNS0_19identity_decomposerEEEvT1_PT2_SG_SG_T3_jj.private_seg_size, 0
	.set _ZN7rocprim17ROCPRIM_304000_NS6detail26onesweep_histograms_kernelINS1_34wrapped_radix_sort_onesweep_configINS0_14default_configEiN2at4cuda3cub6detail10OpaqueTypeILi1EEEEELb1EPKimNS0_19identity_decomposerEEEvT1_PT2_SG_SG_T3_jj.uses_vcc, 1
	.set _ZN7rocprim17ROCPRIM_304000_NS6detail26onesweep_histograms_kernelINS1_34wrapped_radix_sort_onesweep_configINS0_14default_configEiN2at4cuda3cub6detail10OpaqueTypeILi1EEEEELb1EPKimNS0_19identity_decomposerEEEvT1_PT2_SG_SG_T3_jj.uses_flat_scratch, 0
	.set _ZN7rocprim17ROCPRIM_304000_NS6detail26onesweep_histograms_kernelINS1_34wrapped_radix_sort_onesweep_configINS0_14default_configEiN2at4cuda3cub6detail10OpaqueTypeILi1EEEEELb1EPKimNS0_19identity_decomposerEEEvT1_PT2_SG_SG_T3_jj.has_dyn_sized_stack, 0
	.set _ZN7rocprim17ROCPRIM_304000_NS6detail26onesweep_histograms_kernelINS1_34wrapped_radix_sort_onesweep_configINS0_14default_configEiN2at4cuda3cub6detail10OpaqueTypeILi1EEEEELb1EPKimNS0_19identity_decomposerEEEvT1_PT2_SG_SG_T3_jj.has_recursion, 0
	.set _ZN7rocprim17ROCPRIM_304000_NS6detail26onesweep_histograms_kernelINS1_34wrapped_radix_sort_onesweep_configINS0_14default_configEiN2at4cuda3cub6detail10OpaqueTypeILi1EEEEELb1EPKimNS0_19identity_decomposerEEEvT1_PT2_SG_SG_T3_jj.has_indirect_call, 0
	.section	.AMDGPU.csdata,"",@progbits
; Kernel info:
; codeLenInByte = 8528
; TotalNumSgprs: 65
; NumVgprs: 32
; NumAgprs: 0
; TotalNumVgprs: 32
; ScratchSize: 0
; MemoryBound: 0
; FloatMode: 240
; IeeeMode: 1
; LDSByteSize: 16384 bytes/workgroup (compile time only)
; SGPRBlocks: 8
; VGPRBlocks: 3
; NumSGPRsForWavesPerEU: 65
; NumVGPRsForWavesPerEU: 32
; AccumOffset: 32
; Occupancy: 8
; WaveLimiterHint : 1
; COMPUTE_PGM_RSRC2:SCRATCH_EN: 0
; COMPUTE_PGM_RSRC2:USER_SGPR: 2
; COMPUTE_PGM_RSRC2:TRAP_HANDLER: 0
; COMPUTE_PGM_RSRC2:TGID_X_EN: 1
; COMPUTE_PGM_RSRC2:TGID_Y_EN: 0
; COMPUTE_PGM_RSRC2:TGID_Z_EN: 0
; COMPUTE_PGM_RSRC2:TIDIG_COMP_CNT: 0
; COMPUTE_PGM_RSRC3_GFX90A:ACCUM_OFFSET: 7
; COMPUTE_PGM_RSRC3_GFX90A:TG_SPLIT: 0
	.section	.text._ZN7rocprim17ROCPRIM_304000_NS6detail31onesweep_scan_histograms_kernelINS1_34wrapped_radix_sort_onesweep_configINS0_14default_configEiN2at4cuda3cub6detail10OpaqueTypeILi1EEEEEmEEvPT0_,"axG",@progbits,_ZN7rocprim17ROCPRIM_304000_NS6detail31onesweep_scan_histograms_kernelINS1_34wrapped_radix_sort_onesweep_configINS0_14default_configEiN2at4cuda3cub6detail10OpaqueTypeILi1EEEEEmEEvPT0_,comdat
	.protected	_ZN7rocprim17ROCPRIM_304000_NS6detail31onesweep_scan_histograms_kernelINS1_34wrapped_radix_sort_onesweep_configINS0_14default_configEiN2at4cuda3cub6detail10OpaqueTypeILi1EEEEEmEEvPT0_ ; -- Begin function _ZN7rocprim17ROCPRIM_304000_NS6detail31onesweep_scan_histograms_kernelINS1_34wrapped_radix_sort_onesweep_configINS0_14default_configEiN2at4cuda3cub6detail10OpaqueTypeILi1EEEEEmEEvPT0_
	.globl	_ZN7rocprim17ROCPRIM_304000_NS6detail31onesweep_scan_histograms_kernelINS1_34wrapped_radix_sort_onesweep_configINS0_14default_configEiN2at4cuda3cub6detail10OpaqueTypeILi1EEEEEmEEvPT0_
	.p2align	8
	.type	_ZN7rocprim17ROCPRIM_304000_NS6detail31onesweep_scan_histograms_kernelINS1_34wrapped_radix_sort_onesweep_configINS0_14default_configEiN2at4cuda3cub6detail10OpaqueTypeILi1EEEEEmEEvPT0_,@function
_ZN7rocprim17ROCPRIM_304000_NS6detail31onesweep_scan_histograms_kernelINS1_34wrapped_radix_sort_onesweep_configINS0_14default_configEiN2at4cuda3cub6detail10OpaqueTypeILi1EEEEEmEEvPT0_: ; @_ZN7rocprim17ROCPRIM_304000_NS6detail31onesweep_scan_histograms_kernelINS1_34wrapped_radix_sort_onesweep_configINS0_14default_configEiN2at4cuda3cub6detail10OpaqueTypeILi1EEEEEmEEvPT0_
; %bb.0:
	s_load_dwordx2 s[0:1], s[0:1], 0x0
	s_lshl_b32 s2, s2, 8
	s_mov_b32 s3, 0
	s_lshl_b64 s[2:3], s[2:3], 3
	v_lshlrev_b32_e32 v8, 3, v0
	s_waitcnt lgkmcnt(0)
	s_add_u32 s6, s0, s2
	s_movk_i32 s0, 0x100
	s_addc_u32 s7, s1, s3
	v_cmp_gt_u32_e32 vcc, s0, v0
                                        ; implicit-def: $vgpr2_vgpr3
	s_and_saveexec_b64 s[0:1], vcc
	s_cbranch_execz .LBB11_2
; %bb.1:
	global_load_dwordx2 v[2:3], v8, s[6:7]
.LBB11_2:
	s_or_b64 exec, exec, s[0:1]
	v_mbcnt_lo_u32_b32 v1, -1, 0
	v_mov_b32_e32 v6, 0
	v_mbcnt_hi_u32_b32 v9, -1, v1
	s_waitcnt vmcnt(0)
	v_mov_b32_dpp v4, v2 row_shr:1 row_mask:0xf bank_mask:0xf
	v_mov_b32_e32 v5, v6
	v_and_b32_e32 v1, 15, v9
	v_mov_b32_dpp v7, v3 row_shr:1 row_mask:0xf bank_mask:0xf
	v_lshl_add_u64 v[4:5], v[2:3], 0, v[4:5]
	v_lshl_add_u64 v[6:7], v[6:7], 0, v[4:5]
	v_cmp_eq_u32_e64 s[0:1], 0, v1
	v_cmp_ne_u32_e64 s[4:5], 0, v9
	s_nop 0
	v_cndmask_b32_e64 v10, v4, v2, s[0:1]
	v_cndmask_b32_e64 v5, v7, v3, s[0:1]
	v_cndmask_b32_e64 v4, v6, v2, s[0:1]
	v_mov_b32_dpp v6, v10 row_shr:2 row_mask:0xf bank_mask:0xf
	v_mov_b32_dpp v7, v5 row_shr:2 row_mask:0xf bank_mask:0xf
	v_lshl_add_u64 v[6:7], v[6:7], 0, v[4:5]
	v_cmp_lt_u32_e64 s[0:1], 1, v1
	s_nop 1
	v_cndmask_b32_e64 v10, v10, v6, s[0:1]
	v_cndmask_b32_e64 v5, v5, v7, s[0:1]
	v_cndmask_b32_e64 v4, v4, v6, s[0:1]
	v_mov_b32_dpp v6, v10 row_shr:4 row_mask:0xf bank_mask:0xf
	v_mov_b32_dpp v7, v5 row_shr:4 row_mask:0xf bank_mask:0xf
	v_lshl_add_u64 v[6:7], v[6:7], 0, v[4:5]
	v_cmp_lt_u32_e64 s[0:1], 3, v1
	;; [unrolled: 8-line block ×3, first 2 shown]
	s_nop 1
	v_cndmask_b32_e64 v1, v10, v6, s[0:1]
	v_cndmask_b32_e64 v5, v5, v7, s[0:1]
	;; [unrolled: 1-line block ×3, first 2 shown]
	v_mov_b32_dpp v6, v1 row_bcast:15 row_mask:0xf bank_mask:0xf
	v_mov_b32_dpp v7, v5 row_bcast:15 row_mask:0xf bank_mask:0xf
	v_and_b32_e32 v10, 16, v9
	v_lshl_add_u64 v[6:7], v[6:7], 0, v[4:5]
	v_cmp_eq_u32_e64 s[2:3], 0, v10
	v_cmp_eq_u32_e64 s[0:1], 0, v9
	s_nop 0
	v_cndmask_b32_e64 v10, v7, v5, s[2:3]
	v_cndmask_b32_e64 v1, v6, v1, s[2:3]
	s_nop 0
	v_mov_b32_dpp v10, v10 row_bcast:31 row_mask:0xf bank_mask:0xf
	v_mov_b32_dpp v1, v1 row_bcast:31 row_mask:0xf bank_mask:0xf
	s_and_saveexec_b64 s[8:9], s[4:5]
; %bb.3:
	v_cndmask_b32_e64 v3, v7, v5, s[2:3]
	v_cndmask_b32_e64 v2, v6, v4, s[2:3]
	v_cmp_lt_u32_e64 s[2:3], 31, v9
	s_nop 1
	v_cndmask_b32_e64 v5, 0, v10, s[2:3]
	v_cndmask_b32_e64 v4, 0, v1, s[2:3]
	v_lshl_add_u64 v[2:3], v[4:5], 0, v[2:3]
; %bb.4:
	s_or_b64 exec, exec, s[8:9]
	v_or_b32_e32 v1, 63, v0
	v_lshrrev_b32_e32 v4, 6, v0
	v_cmp_eq_u32_e64 s[2:3], v0, v1
	s_and_saveexec_b64 s[4:5], s[2:3]
; %bb.5:
	v_lshlrev_b32_e32 v1, 3, v4
	ds_write_b64 v1, v[2:3]
; %bb.6:
	s_or_b64 exec, exec, s[4:5]
	v_cmp_gt_u32_e64 s[2:3], 4, v0
	s_waitcnt lgkmcnt(0)
	s_barrier
	s_and_saveexec_b64 s[4:5], s[2:3]
	s_cbranch_execz .LBB11_8
; %bb.7:
	ds_read_b64 v[6:7], v8
	v_mov_b32_e32 v10, 0
	v_mov_b32_e32 v13, v10
	v_and_b32_e32 v1, 3, v9
	v_cmp_eq_u32_e64 s[2:3], 0, v1
	s_waitcnt lgkmcnt(0)
	v_mov_b32_dpp v12, v6 row_shr:1 row_mask:0xf bank_mask:0xf
	v_mov_b32_dpp v11, v7 row_shr:1 row_mask:0xf bank_mask:0xf
	v_lshl_add_u64 v[12:13], v[6:7], 0, v[12:13]
	v_lshl_add_u64 v[10:11], v[10:11], 0, v[12:13]
	v_cndmask_b32_e64 v11, v11, v7, s[2:3]
	v_cndmask_b32_e64 v5, v12, v6, s[2:3]
	;; [unrolled: 1-line block ×3, first 2 shown]
	v_mov_b32_dpp v7, v11 row_shr:2 row_mask:0xf bank_mask:0xf
	v_mov_b32_dpp v5, v5 row_shr:2 row_mask:0xf bank_mask:0xf
	v_cmp_lt_u32_e64 s[2:3], 1, v1
	s_nop 1
	v_cndmask_b32_e64 v6, 0, v5, s[2:3]
	v_cndmask_b32_e64 v7, 0, v7, s[2:3]
	v_lshl_add_u64 v[6:7], v[6:7], 0, v[10:11]
	ds_write_b64 v8, v[6:7]
.LBB11_8:
	s_or_b64 exec, exec, s[4:5]
	v_cmp_lt_u32_e64 s[2:3], 63, v0
	v_mov_b64_e32 v[0:1], 0
	s_waitcnt lgkmcnt(0)
	s_barrier
	s_and_saveexec_b64 s[4:5], s[2:3]
; %bb.9:
	v_lshl_add_u32 v0, v4, 3, -8
	ds_read_b64 v[0:1], v0
; %bb.10:
	s_or_b64 exec, exec, s[4:5]
	v_add_u32_e32 v4, -1, v9
	v_and_b32_e32 v5, 64, v9
	v_cmp_lt_i32_e64 s[2:3], v4, v5
	s_waitcnt lgkmcnt(0)
	v_lshl_add_u64 v[2:3], v[0:1], 0, v[2:3]
	v_cndmask_b32_e64 v4, v4, v9, s[2:3]
	v_lshlrev_b32_e32 v4, 2, v4
	ds_bpermute_b32 v2, v4, v2
	ds_bpermute_b32 v3, v4, v3
	s_and_saveexec_b64 s[2:3], vcc
	s_cbranch_execz .LBB11_12
; %bb.11:
	s_waitcnt lgkmcnt(0)
	v_cndmask_b32_e64 v1, v3, v1, s[0:1]
	v_cndmask_b32_e64 v0, v2, v0, s[0:1]
	global_store_dwordx2 v8, v[0:1], s[6:7]
.LBB11_12:
	s_endpgm
	.section	.rodata,"a",@progbits
	.p2align	6, 0x0
	.amdhsa_kernel _ZN7rocprim17ROCPRIM_304000_NS6detail31onesweep_scan_histograms_kernelINS1_34wrapped_radix_sort_onesweep_configINS0_14default_configEiN2at4cuda3cub6detail10OpaqueTypeILi1EEEEEmEEvPT0_
		.amdhsa_group_segment_fixed_size 32
		.amdhsa_private_segment_fixed_size 0
		.amdhsa_kernarg_size 8
		.amdhsa_user_sgpr_count 2
		.amdhsa_user_sgpr_dispatch_ptr 0
		.amdhsa_user_sgpr_queue_ptr 0
		.amdhsa_user_sgpr_kernarg_segment_ptr 1
		.amdhsa_user_sgpr_dispatch_id 0
		.amdhsa_user_sgpr_kernarg_preload_length 0
		.amdhsa_user_sgpr_kernarg_preload_offset 0
		.amdhsa_user_sgpr_private_segment_size 0
		.amdhsa_uses_dynamic_stack 0
		.amdhsa_enable_private_segment 0
		.amdhsa_system_sgpr_workgroup_id_x 1
		.amdhsa_system_sgpr_workgroup_id_y 0
		.amdhsa_system_sgpr_workgroup_id_z 0
		.amdhsa_system_sgpr_workgroup_info 0
		.amdhsa_system_vgpr_workitem_id 0
		.amdhsa_next_free_vgpr 14
		.amdhsa_next_free_sgpr 10
		.amdhsa_accum_offset 16
		.amdhsa_reserve_vcc 1
		.amdhsa_float_round_mode_32 0
		.amdhsa_float_round_mode_16_64 0
		.amdhsa_float_denorm_mode_32 3
		.amdhsa_float_denorm_mode_16_64 3
		.amdhsa_dx10_clamp 1
		.amdhsa_ieee_mode 1
		.amdhsa_fp16_overflow 0
		.amdhsa_tg_split 0
		.amdhsa_exception_fp_ieee_invalid_op 0
		.amdhsa_exception_fp_denorm_src 0
		.amdhsa_exception_fp_ieee_div_zero 0
		.amdhsa_exception_fp_ieee_overflow 0
		.amdhsa_exception_fp_ieee_underflow 0
		.amdhsa_exception_fp_ieee_inexact 0
		.amdhsa_exception_int_div_zero 0
	.end_amdhsa_kernel
	.section	.text._ZN7rocprim17ROCPRIM_304000_NS6detail31onesweep_scan_histograms_kernelINS1_34wrapped_radix_sort_onesweep_configINS0_14default_configEiN2at4cuda3cub6detail10OpaqueTypeILi1EEEEEmEEvPT0_,"axG",@progbits,_ZN7rocprim17ROCPRIM_304000_NS6detail31onesweep_scan_histograms_kernelINS1_34wrapped_radix_sort_onesweep_configINS0_14default_configEiN2at4cuda3cub6detail10OpaqueTypeILi1EEEEEmEEvPT0_,comdat
.Lfunc_end11:
	.size	_ZN7rocprim17ROCPRIM_304000_NS6detail31onesweep_scan_histograms_kernelINS1_34wrapped_radix_sort_onesweep_configINS0_14default_configEiN2at4cuda3cub6detail10OpaqueTypeILi1EEEEEmEEvPT0_, .Lfunc_end11-_ZN7rocprim17ROCPRIM_304000_NS6detail31onesweep_scan_histograms_kernelINS1_34wrapped_radix_sort_onesweep_configINS0_14default_configEiN2at4cuda3cub6detail10OpaqueTypeILi1EEEEEmEEvPT0_
                                        ; -- End function
	.set _ZN7rocprim17ROCPRIM_304000_NS6detail31onesweep_scan_histograms_kernelINS1_34wrapped_radix_sort_onesweep_configINS0_14default_configEiN2at4cuda3cub6detail10OpaqueTypeILi1EEEEEmEEvPT0_.num_vgpr, 14
	.set _ZN7rocprim17ROCPRIM_304000_NS6detail31onesweep_scan_histograms_kernelINS1_34wrapped_radix_sort_onesweep_configINS0_14default_configEiN2at4cuda3cub6detail10OpaqueTypeILi1EEEEEmEEvPT0_.num_agpr, 0
	.set _ZN7rocprim17ROCPRIM_304000_NS6detail31onesweep_scan_histograms_kernelINS1_34wrapped_radix_sort_onesweep_configINS0_14default_configEiN2at4cuda3cub6detail10OpaqueTypeILi1EEEEEmEEvPT0_.numbered_sgpr, 10
	.set _ZN7rocprim17ROCPRIM_304000_NS6detail31onesweep_scan_histograms_kernelINS1_34wrapped_radix_sort_onesweep_configINS0_14default_configEiN2at4cuda3cub6detail10OpaqueTypeILi1EEEEEmEEvPT0_.num_named_barrier, 0
	.set _ZN7rocprim17ROCPRIM_304000_NS6detail31onesweep_scan_histograms_kernelINS1_34wrapped_radix_sort_onesweep_configINS0_14default_configEiN2at4cuda3cub6detail10OpaqueTypeILi1EEEEEmEEvPT0_.private_seg_size, 0
	.set _ZN7rocprim17ROCPRIM_304000_NS6detail31onesweep_scan_histograms_kernelINS1_34wrapped_radix_sort_onesweep_configINS0_14default_configEiN2at4cuda3cub6detail10OpaqueTypeILi1EEEEEmEEvPT0_.uses_vcc, 1
	.set _ZN7rocprim17ROCPRIM_304000_NS6detail31onesweep_scan_histograms_kernelINS1_34wrapped_radix_sort_onesweep_configINS0_14default_configEiN2at4cuda3cub6detail10OpaqueTypeILi1EEEEEmEEvPT0_.uses_flat_scratch, 0
	.set _ZN7rocprim17ROCPRIM_304000_NS6detail31onesweep_scan_histograms_kernelINS1_34wrapped_radix_sort_onesweep_configINS0_14default_configEiN2at4cuda3cub6detail10OpaqueTypeILi1EEEEEmEEvPT0_.has_dyn_sized_stack, 0
	.set _ZN7rocprim17ROCPRIM_304000_NS6detail31onesweep_scan_histograms_kernelINS1_34wrapped_radix_sort_onesweep_configINS0_14default_configEiN2at4cuda3cub6detail10OpaqueTypeILi1EEEEEmEEvPT0_.has_recursion, 0
	.set _ZN7rocprim17ROCPRIM_304000_NS6detail31onesweep_scan_histograms_kernelINS1_34wrapped_radix_sort_onesweep_configINS0_14default_configEiN2at4cuda3cub6detail10OpaqueTypeILi1EEEEEmEEvPT0_.has_indirect_call, 0
	.section	.AMDGPU.csdata,"",@progbits
; Kernel info:
; codeLenInByte = 848
; TotalNumSgprs: 16
; NumVgprs: 14
; NumAgprs: 0
; TotalNumVgprs: 14
; ScratchSize: 0
; MemoryBound: 0
; FloatMode: 240
; IeeeMode: 1
; LDSByteSize: 32 bytes/workgroup (compile time only)
; SGPRBlocks: 1
; VGPRBlocks: 1
; NumSGPRsForWavesPerEU: 16
; NumVGPRsForWavesPerEU: 14
; AccumOffset: 16
; Occupancy: 8
; WaveLimiterHint : 0
; COMPUTE_PGM_RSRC2:SCRATCH_EN: 0
; COMPUTE_PGM_RSRC2:USER_SGPR: 2
; COMPUTE_PGM_RSRC2:TRAP_HANDLER: 0
; COMPUTE_PGM_RSRC2:TGID_X_EN: 1
; COMPUTE_PGM_RSRC2:TGID_Y_EN: 0
; COMPUTE_PGM_RSRC2:TGID_Z_EN: 0
; COMPUTE_PGM_RSRC2:TIDIG_COMP_CNT: 0
; COMPUTE_PGM_RSRC3_GFX90A:ACCUM_OFFSET: 3
; COMPUTE_PGM_RSRC3_GFX90A:TG_SPLIT: 0
	.section	.text._ZN7rocprim17ROCPRIM_304000_NS6detail16transform_kernelINS1_24wrapped_transform_configINS0_14default_configEiEEiPKiPiNS0_8identityIiEEEEvT1_mT2_T3_,"axG",@progbits,_ZN7rocprim17ROCPRIM_304000_NS6detail16transform_kernelINS1_24wrapped_transform_configINS0_14default_configEiEEiPKiPiNS0_8identityIiEEEEvT1_mT2_T3_,comdat
	.protected	_ZN7rocprim17ROCPRIM_304000_NS6detail16transform_kernelINS1_24wrapped_transform_configINS0_14default_configEiEEiPKiPiNS0_8identityIiEEEEvT1_mT2_T3_ ; -- Begin function _ZN7rocprim17ROCPRIM_304000_NS6detail16transform_kernelINS1_24wrapped_transform_configINS0_14default_configEiEEiPKiPiNS0_8identityIiEEEEvT1_mT2_T3_
	.globl	_ZN7rocprim17ROCPRIM_304000_NS6detail16transform_kernelINS1_24wrapped_transform_configINS0_14default_configEiEEiPKiPiNS0_8identityIiEEEEvT1_mT2_T3_
	.p2align	8
	.type	_ZN7rocprim17ROCPRIM_304000_NS6detail16transform_kernelINS1_24wrapped_transform_configINS0_14default_configEiEEiPKiPiNS0_8identityIiEEEEvT1_mT2_T3_,@function
_ZN7rocprim17ROCPRIM_304000_NS6detail16transform_kernelINS1_24wrapped_transform_configINS0_14default_configEiEEiPKiPiNS0_8identityIiEEEEvT1_mT2_T3_: ; @_ZN7rocprim17ROCPRIM_304000_NS6detail16transform_kernelINS1_24wrapped_transform_configINS0_14default_configEiEEiPKiPiNS0_8identityIiEEEEvT1_mT2_T3_
; %bb.0:
	s_load_dword s3, s[0:1], 0x20
	s_load_dwordx4 s[4:7], s[0:1], 0x0
	s_load_dwordx2 s[8:9], s[0:1], 0x10
	s_lshl_b32 s0, s2, 8
	s_mov_b32 s1, 0
	s_waitcnt lgkmcnt(0)
	s_add_i32 s3, s3, -1
	s_lshl_b64 s[10:11], s[0:1], 2
	s_add_u32 s4, s4, s10
	s_addc_u32 s5, s5, s11
	v_mov_b32_e32 v3, 0
	v_lshlrev_b32_e32 v2, 2, v0
	s_cmp_lg_u32 s2, s3
	v_lshl_add_u64 v[4:5], s[4:5], 0, v[2:3]
	s_cbranch_scc0 .LBB12_2
; %bb.1:
	global_load_dword v3, v[4:5], off
	global_load_dword v1, v[4:5], off offset:512
	s_add_u32 s2, s8, s10
	s_addc_u32 s3, s9, s11
	s_waitcnt vmcnt(1)
	global_store_dword v2, v3, s[2:3]
	s_mov_b64 s[2:3], -1
	s_cbranch_execz .LBB12_3
	s_branch .LBB12_10
.LBB12_2:
	s_mov_b64 s[2:3], 0
                                        ; implicit-def: $vgpr1
.LBB12_3:
	s_sub_i32 s4, s6, s0
	v_mov_b32_e32 v6, 0
	v_cmp_gt_u32_e32 vcc, s4, v0
	v_mov_b32_e32 v7, v6
	s_and_saveexec_b64 s[0:1], vcc
	s_cbranch_execz .LBB12_5
; %bb.4:
	global_load_dword v8, v[4:5], off
	v_mov_b32_e32 v9, v6
	s_waitcnt vmcnt(0)
	v_mov_b64_e32 v[6:7], v[8:9]
.LBB12_5:
	s_or_b64 exec, exec, s[0:1]
	v_or_b32_e32 v0, 0x80, v0
	v_cmp_gt_u32_e64 s[0:1], s4, v0
	s_and_saveexec_b64 s[4:5], s[0:1]
	s_cbranch_execnz .LBB12_13
; %bb.6:
	s_or_b64 exec, exec, s[4:5]
	v_cndmask_b32_e32 v0, 0, v6, vcc
	s_and_saveexec_b64 s[4:5], vcc
	s_cbranch_execnz .LBB12_14
.LBB12_7:
	s_or_b64 exec, exec, s[4:5]
                                        ; implicit-def: $vgpr1
	s_and_saveexec_b64 s[4:5], s[0:1]
	s_cbranch_execz .LBB12_9
.LBB12_8:
	s_waitcnt vmcnt(0)
	v_cndmask_b32_e64 v1, 0, v7, s[0:1]
	s_or_b64 s[2:3], s[2:3], exec
.LBB12_9:
	s_or_b64 exec, exec, s[4:5]
.LBB12_10:
	s_and_saveexec_b64 s[0:1], s[2:3]
	s_cbranch_execnz .LBB12_12
; %bb.11:
	s_endpgm
.LBB12_12:
	s_add_u32 s0, s8, s10
	s_addc_u32 s1, s9, s11
	s_waitcnt vmcnt(1)
	global_store_dword v2, v1, s[0:1] offset:512
	s_endpgm
.LBB12_13:
	global_load_dword v7, v[4:5], off offset:512
	s_or_b64 exec, exec, s[4:5]
	v_cndmask_b32_e32 v0, 0, v6, vcc
	s_and_saveexec_b64 s[4:5], vcc
	s_cbranch_execz .LBB12_7
.LBB12_14:
	s_add_u32 s6, s8, s10
	s_addc_u32 s7, s9, s11
	global_store_dword v2, v0, s[6:7]
	s_or_b64 exec, exec, s[4:5]
                                        ; implicit-def: $vgpr1
	s_and_saveexec_b64 s[4:5], s[0:1]
	s_cbranch_execnz .LBB12_8
	s_branch .LBB12_9
	.section	.rodata,"a",@progbits
	.p2align	6, 0x0
	.amdhsa_kernel _ZN7rocprim17ROCPRIM_304000_NS6detail16transform_kernelINS1_24wrapped_transform_configINS0_14default_configEiEEiPKiPiNS0_8identityIiEEEEvT1_mT2_T3_
		.amdhsa_group_segment_fixed_size 0
		.amdhsa_private_segment_fixed_size 0
		.amdhsa_kernarg_size 288
		.amdhsa_user_sgpr_count 2
		.amdhsa_user_sgpr_dispatch_ptr 0
		.amdhsa_user_sgpr_queue_ptr 0
		.amdhsa_user_sgpr_kernarg_segment_ptr 1
		.amdhsa_user_sgpr_dispatch_id 0
		.amdhsa_user_sgpr_kernarg_preload_length 0
		.amdhsa_user_sgpr_kernarg_preload_offset 0
		.amdhsa_user_sgpr_private_segment_size 0
		.amdhsa_uses_dynamic_stack 0
		.amdhsa_enable_private_segment 0
		.amdhsa_system_sgpr_workgroup_id_x 1
		.amdhsa_system_sgpr_workgroup_id_y 0
		.amdhsa_system_sgpr_workgroup_id_z 0
		.amdhsa_system_sgpr_workgroup_info 0
		.amdhsa_system_vgpr_workitem_id 0
		.amdhsa_next_free_vgpr 10
		.amdhsa_next_free_sgpr 12
		.amdhsa_accum_offset 12
		.amdhsa_reserve_vcc 1
		.amdhsa_float_round_mode_32 0
		.amdhsa_float_round_mode_16_64 0
		.amdhsa_float_denorm_mode_32 3
		.amdhsa_float_denorm_mode_16_64 3
		.amdhsa_dx10_clamp 1
		.amdhsa_ieee_mode 1
		.amdhsa_fp16_overflow 0
		.amdhsa_tg_split 0
		.amdhsa_exception_fp_ieee_invalid_op 0
		.amdhsa_exception_fp_denorm_src 0
		.amdhsa_exception_fp_ieee_div_zero 0
		.amdhsa_exception_fp_ieee_overflow 0
		.amdhsa_exception_fp_ieee_underflow 0
		.amdhsa_exception_fp_ieee_inexact 0
		.amdhsa_exception_int_div_zero 0
	.end_amdhsa_kernel
	.section	.text._ZN7rocprim17ROCPRIM_304000_NS6detail16transform_kernelINS1_24wrapped_transform_configINS0_14default_configEiEEiPKiPiNS0_8identityIiEEEEvT1_mT2_T3_,"axG",@progbits,_ZN7rocprim17ROCPRIM_304000_NS6detail16transform_kernelINS1_24wrapped_transform_configINS0_14default_configEiEEiPKiPiNS0_8identityIiEEEEvT1_mT2_T3_,comdat
.Lfunc_end12:
	.size	_ZN7rocprim17ROCPRIM_304000_NS6detail16transform_kernelINS1_24wrapped_transform_configINS0_14default_configEiEEiPKiPiNS0_8identityIiEEEEvT1_mT2_T3_, .Lfunc_end12-_ZN7rocprim17ROCPRIM_304000_NS6detail16transform_kernelINS1_24wrapped_transform_configINS0_14default_configEiEEiPKiPiNS0_8identityIiEEEEvT1_mT2_T3_
                                        ; -- End function
	.set _ZN7rocprim17ROCPRIM_304000_NS6detail16transform_kernelINS1_24wrapped_transform_configINS0_14default_configEiEEiPKiPiNS0_8identityIiEEEEvT1_mT2_T3_.num_vgpr, 10
	.set _ZN7rocprim17ROCPRIM_304000_NS6detail16transform_kernelINS1_24wrapped_transform_configINS0_14default_configEiEEiPKiPiNS0_8identityIiEEEEvT1_mT2_T3_.num_agpr, 0
	.set _ZN7rocprim17ROCPRIM_304000_NS6detail16transform_kernelINS1_24wrapped_transform_configINS0_14default_configEiEEiPKiPiNS0_8identityIiEEEEvT1_mT2_T3_.numbered_sgpr, 12
	.set _ZN7rocprim17ROCPRIM_304000_NS6detail16transform_kernelINS1_24wrapped_transform_configINS0_14default_configEiEEiPKiPiNS0_8identityIiEEEEvT1_mT2_T3_.num_named_barrier, 0
	.set _ZN7rocprim17ROCPRIM_304000_NS6detail16transform_kernelINS1_24wrapped_transform_configINS0_14default_configEiEEiPKiPiNS0_8identityIiEEEEvT1_mT2_T3_.private_seg_size, 0
	.set _ZN7rocprim17ROCPRIM_304000_NS6detail16transform_kernelINS1_24wrapped_transform_configINS0_14default_configEiEEiPKiPiNS0_8identityIiEEEEvT1_mT2_T3_.uses_vcc, 1
	.set _ZN7rocprim17ROCPRIM_304000_NS6detail16transform_kernelINS1_24wrapped_transform_configINS0_14default_configEiEEiPKiPiNS0_8identityIiEEEEvT1_mT2_T3_.uses_flat_scratch, 0
	.set _ZN7rocprim17ROCPRIM_304000_NS6detail16transform_kernelINS1_24wrapped_transform_configINS0_14default_configEiEEiPKiPiNS0_8identityIiEEEEvT1_mT2_T3_.has_dyn_sized_stack, 0
	.set _ZN7rocprim17ROCPRIM_304000_NS6detail16transform_kernelINS1_24wrapped_transform_configINS0_14default_configEiEEiPKiPiNS0_8identityIiEEEEvT1_mT2_T3_.has_recursion, 0
	.set _ZN7rocprim17ROCPRIM_304000_NS6detail16transform_kernelINS1_24wrapped_transform_configINS0_14default_configEiEEiPKiPiNS0_8identityIiEEEEvT1_mT2_T3_.has_indirect_call, 0
	.section	.AMDGPU.csdata,"",@progbits
; Kernel info:
; codeLenInByte = 340
; TotalNumSgprs: 18
; NumVgprs: 10
; NumAgprs: 0
; TotalNumVgprs: 10
; ScratchSize: 0
; MemoryBound: 0
; FloatMode: 240
; IeeeMode: 1
; LDSByteSize: 0 bytes/workgroup (compile time only)
; SGPRBlocks: 2
; VGPRBlocks: 1
; NumSGPRsForWavesPerEU: 18
; NumVGPRsForWavesPerEU: 10
; AccumOffset: 12
; Occupancy: 8
; WaveLimiterHint : 1
; COMPUTE_PGM_RSRC2:SCRATCH_EN: 0
; COMPUTE_PGM_RSRC2:USER_SGPR: 2
; COMPUTE_PGM_RSRC2:TRAP_HANDLER: 0
; COMPUTE_PGM_RSRC2:TGID_X_EN: 1
; COMPUTE_PGM_RSRC2:TGID_Y_EN: 0
; COMPUTE_PGM_RSRC2:TGID_Z_EN: 0
; COMPUTE_PGM_RSRC2:TIDIG_COMP_CNT: 0
; COMPUTE_PGM_RSRC3_GFX90A:ACCUM_OFFSET: 2
; COMPUTE_PGM_RSRC3_GFX90A:TG_SPLIT: 0
	.section	.text._ZN7rocprim17ROCPRIM_304000_NS6detail16transform_kernelINS1_24wrapped_transform_configINS0_14default_configEN2at4cuda3cub6detail10OpaqueTypeILi1EEEEESA_PKSA_PSA_NS0_8identityISA_EEEEvT1_mT2_T3_,"axG",@progbits,_ZN7rocprim17ROCPRIM_304000_NS6detail16transform_kernelINS1_24wrapped_transform_configINS0_14default_configEN2at4cuda3cub6detail10OpaqueTypeILi1EEEEESA_PKSA_PSA_NS0_8identityISA_EEEEvT1_mT2_T3_,comdat
	.protected	_ZN7rocprim17ROCPRIM_304000_NS6detail16transform_kernelINS1_24wrapped_transform_configINS0_14default_configEN2at4cuda3cub6detail10OpaqueTypeILi1EEEEESA_PKSA_PSA_NS0_8identityISA_EEEEvT1_mT2_T3_ ; -- Begin function _ZN7rocprim17ROCPRIM_304000_NS6detail16transform_kernelINS1_24wrapped_transform_configINS0_14default_configEN2at4cuda3cub6detail10OpaqueTypeILi1EEEEESA_PKSA_PSA_NS0_8identityISA_EEEEvT1_mT2_T3_
	.globl	_ZN7rocprim17ROCPRIM_304000_NS6detail16transform_kernelINS1_24wrapped_transform_configINS0_14default_configEN2at4cuda3cub6detail10OpaqueTypeILi1EEEEESA_PKSA_PSA_NS0_8identityISA_EEEEvT1_mT2_T3_
	.p2align	8
	.type	_ZN7rocprim17ROCPRIM_304000_NS6detail16transform_kernelINS1_24wrapped_transform_configINS0_14default_configEN2at4cuda3cub6detail10OpaqueTypeILi1EEEEESA_PKSA_PSA_NS0_8identityISA_EEEEvT1_mT2_T3_,@function
_ZN7rocprim17ROCPRIM_304000_NS6detail16transform_kernelINS1_24wrapped_transform_configINS0_14default_configEN2at4cuda3cub6detail10OpaqueTypeILi1EEEEESA_PKSA_PSA_NS0_8identityISA_EEEEvT1_mT2_T3_: ; @_ZN7rocprim17ROCPRIM_304000_NS6detail16transform_kernelINS1_24wrapped_transform_configINS0_14default_configEN2at4cuda3cub6detail10OpaqueTypeILi1EEEEESA_PKSA_PSA_NS0_8identityISA_EEEEvT1_mT2_T3_
; %bb.0:
	s_load_dword s3, s[0:1], 0x20
	s_load_dwordx4 s[4:7], s[0:1], 0x0
	s_load_dwordx2 s[12:13], s[0:1], 0x10
	s_lshl_b32 s18, s2, 10
	v_mov_b32_e32 v1, 0
	s_waitcnt lgkmcnt(0)
	s_add_i32 s3, s3, -1
	s_add_u32 s0, s4, s18
	s_addc_u32 s1, s5, 0
	s_cmp_lg_u32 s2, s3
	v_lshl_add_u64 v[2:3], s[0:1], 0, v[0:1]
	s_cbranch_scc0 .LBB13_2
; %bb.1:
	global_load_ubyte v5, v[2:3], off
	global_load_ubyte v8, v[2:3], off offset:128
	global_load_ubyte v9, v[2:3], off offset:256
	;; [unrolled: 1-line block ×7, first 2 shown]
	s_add_u32 s2, s12, s18
	s_addc_u32 s3, s13, 0
	v_lshl_add_u64 v[6:7], s[2:3], 0, v[0:1]
	s_mov_b64 s[14:15], -1
	s_waitcnt vmcnt(7)
	global_store_byte v[6:7], v5, off
	s_waitcnt vmcnt(7)
	global_store_byte v[6:7], v8, off offset:128
	s_waitcnt vmcnt(7)
	global_store_byte v[6:7], v9, off offset:256
	;; [unrolled: 2-line block ×6, first 2 shown]
	s_cbranch_execz .LBB13_3
	s_branch .LBB13_28
.LBB13_2:
	s_mov_b64 s[14:15], 0
                                        ; implicit-def: $vgpr4
.LBB13_3:
	s_sub_i32 s16, s6, s18
	v_cmp_gt_u32_e32 vcc, s16, v0
                                        ; implicit-def: $vgpr5
	s_and_saveexec_b64 s[0:1], vcc
	s_cbranch_execz .LBB13_5
; %bb.4:
	global_load_ubyte v5, v[2:3], off
.LBB13_5:
	s_or_b64 exec, exec, s[0:1]
	s_waitcnt vmcnt(7)
	v_or_b32_e32 v4, 0x80, v0
	v_cmp_gt_u32_e64 s[0:1], s16, v4
                                        ; implicit-def: $vgpr6
	s_and_saveexec_b64 s[2:3], s[0:1]
	s_cbranch_execz .LBB13_7
; %bb.6:
	global_load_ubyte v6, v[2:3], off offset:128
.LBB13_7:
	s_or_b64 exec, exec, s[2:3]
	v_or_b32_e32 v4, 0x100, v0
	v_cmp_gt_u32_e64 s[2:3], s16, v4
                                        ; implicit-def: $vgpr7
	s_and_saveexec_b64 s[4:5], s[2:3]
	s_cbranch_execz .LBB13_9
; %bb.8:
	global_load_ubyte v7, v[2:3], off offset:256
.LBB13_9:
	s_or_b64 exec, exec, s[4:5]
	v_or_b32_e32 v4, 0x180, v0
	v_cmp_gt_u32_e64 s[4:5], s16, v4
                                        ; implicit-def: $vgpr8
	s_and_saveexec_b64 s[6:7], s[4:5]
	s_cbranch_execz .LBB13_11
; %bb.10:
	global_load_ubyte v8, v[2:3], off offset:384
.LBB13_11:
	s_or_b64 exec, exec, s[6:7]
	v_or_b32_e32 v4, 0x200, v0
	v_cmp_gt_u32_e64 s[6:7], s16, v4
                                        ; implicit-def: $vgpr9
	s_and_saveexec_b64 s[8:9], s[6:7]
	s_cbranch_execz .LBB13_13
; %bb.12:
	global_load_ubyte v9, v[2:3], off offset:512
.LBB13_13:
	s_or_b64 exec, exec, s[8:9]
	v_or_b32_e32 v4, 0x280, v0
	v_cmp_gt_u32_e64 s[8:9], s16, v4
                                        ; implicit-def: $vgpr10
	s_and_saveexec_b64 s[10:11], s[8:9]
	s_cbranch_execz .LBB13_15
; %bb.14:
	global_load_ubyte v10, v[2:3], off offset:640
.LBB13_15:
	s_or_b64 exec, exec, s[10:11]
	v_or_b32_e32 v4, 0x300, v0
	v_cmp_gt_u32_e64 s[10:11], s16, v4
                                        ; implicit-def: $vgpr11
	s_and_saveexec_b64 s[14:15], s[10:11]
	s_cbranch_execz .LBB13_17
; %bb.16:
	global_load_ubyte v11, v[2:3], off offset:768
.LBB13_17:
	s_or_b64 exec, exec, s[14:15]
	v_or_b32_e32 v4, 0x380, v0
	v_cmp_gt_u32_e64 s[14:15], s16, v4
                                        ; implicit-def: $vgpr4
	s_and_saveexec_b64 s[16:17], s[14:15]
	s_cbranch_execz .LBB13_19
; %bb.18:
	global_load_ubyte v4, v[2:3], off offset:896
.LBB13_19:
	s_or_b64 exec, exec, s[16:17]
	s_add_u32 s16, s12, s18
	s_addc_u32 s17, s13, 0
	v_lshl_add_u64 v[2:3], s[16:17], 0, v[0:1]
	s_and_saveexec_b64 s[16:17], vcc
	s_cbranch_execnz .LBB13_31
; %bb.20:
	s_or_b64 exec, exec, s[16:17]
	s_and_saveexec_b64 s[16:17], s[0:1]
	s_cbranch_execnz .LBB13_32
.LBB13_21:
	s_or_b64 exec, exec, s[16:17]
	s_and_saveexec_b64 s[0:1], s[2:3]
	s_cbranch_execnz .LBB13_33
.LBB13_22:
	s_or_b64 exec, exec, s[0:1]
	s_and_saveexec_b64 s[0:1], s[4:5]
	s_cbranch_execnz .LBB13_34
.LBB13_23:
	s_or_b64 exec, exec, s[0:1]
	s_and_saveexec_b64 s[0:1], s[6:7]
	s_cbranch_execnz .LBB13_35
.LBB13_24:
	s_or_b64 exec, exec, s[0:1]
	s_and_saveexec_b64 s[0:1], s[8:9]
	s_cbranch_execnz .LBB13_36
.LBB13_25:
	s_or_b64 exec, exec, s[0:1]
	s_and_saveexec_b64 s[0:1], s[10:11]
	s_cbranch_execz .LBB13_27
.LBB13_26:
	s_waitcnt vmcnt(0)
	global_store_byte v[2:3], v11, off offset:768
.LBB13_27:
	s_or_b64 exec, exec, s[0:1]
.LBB13_28:
	s_and_saveexec_b64 s[0:1], s[14:15]
	s_cbranch_execnz .LBB13_30
; %bb.29:
	s_endpgm
.LBB13_30:
	s_add_u32 s0, s12, s18
	s_addc_u32 s1, s13, 0
	v_lshl_add_u64 v[0:1], s[0:1], 0, v[0:1]
	s_waitcnt vmcnt(0)
	global_store_byte v[0:1], v4, off offset:896
	s_endpgm
.LBB13_31:
	s_waitcnt vmcnt(0)
	global_store_byte v[2:3], v5, off
	s_or_b64 exec, exec, s[16:17]
	s_and_saveexec_b64 s[16:17], s[0:1]
	s_cbranch_execz .LBB13_21
.LBB13_32:
	s_waitcnt vmcnt(0)
	global_store_byte v[2:3], v6, off offset:128
	s_or_b64 exec, exec, s[16:17]
	s_and_saveexec_b64 s[0:1], s[2:3]
	s_cbranch_execz .LBB13_22
.LBB13_33:
	s_waitcnt vmcnt(0)
	global_store_byte v[2:3], v7, off offset:256
	s_or_b64 exec, exec, s[0:1]
	s_and_saveexec_b64 s[0:1], s[4:5]
	s_cbranch_execz .LBB13_23
.LBB13_34:
	s_waitcnt vmcnt(0)
	global_store_byte v[2:3], v8, off offset:384
	s_or_b64 exec, exec, s[0:1]
	s_and_saveexec_b64 s[0:1], s[6:7]
	s_cbranch_execz .LBB13_24
.LBB13_35:
	s_waitcnt vmcnt(0)
	global_store_byte v[2:3], v9, off offset:512
	s_or_b64 exec, exec, s[0:1]
	s_and_saveexec_b64 s[0:1], s[8:9]
	s_cbranch_execz .LBB13_25
.LBB13_36:
	s_waitcnt vmcnt(0)
	global_store_byte v[2:3], v10, off offset:640
	s_or_b64 exec, exec, s[0:1]
	s_and_saveexec_b64 s[0:1], s[10:11]
	s_cbranch_execnz .LBB13_26
	s_branch .LBB13_27
	.section	.rodata,"a",@progbits
	.p2align	6, 0x0
	.amdhsa_kernel _ZN7rocprim17ROCPRIM_304000_NS6detail16transform_kernelINS1_24wrapped_transform_configINS0_14default_configEN2at4cuda3cub6detail10OpaqueTypeILi1EEEEESA_PKSA_PSA_NS0_8identityISA_EEEEvT1_mT2_T3_
		.amdhsa_group_segment_fixed_size 0
		.amdhsa_private_segment_fixed_size 0
		.amdhsa_kernarg_size 288
		.amdhsa_user_sgpr_count 2
		.amdhsa_user_sgpr_dispatch_ptr 0
		.amdhsa_user_sgpr_queue_ptr 0
		.amdhsa_user_sgpr_kernarg_segment_ptr 1
		.amdhsa_user_sgpr_dispatch_id 0
		.amdhsa_user_sgpr_kernarg_preload_length 0
		.amdhsa_user_sgpr_kernarg_preload_offset 0
		.amdhsa_user_sgpr_private_segment_size 0
		.amdhsa_uses_dynamic_stack 0
		.amdhsa_enable_private_segment 0
		.amdhsa_system_sgpr_workgroup_id_x 1
		.amdhsa_system_sgpr_workgroup_id_y 0
		.amdhsa_system_sgpr_workgroup_id_z 0
		.amdhsa_system_sgpr_workgroup_info 0
		.amdhsa_system_vgpr_workitem_id 0
		.amdhsa_next_free_vgpr 14
		.amdhsa_next_free_sgpr 19
		.amdhsa_accum_offset 16
		.amdhsa_reserve_vcc 1
		.amdhsa_float_round_mode_32 0
		.amdhsa_float_round_mode_16_64 0
		.amdhsa_float_denorm_mode_32 3
		.amdhsa_float_denorm_mode_16_64 3
		.amdhsa_dx10_clamp 1
		.amdhsa_ieee_mode 1
		.amdhsa_fp16_overflow 0
		.amdhsa_tg_split 0
		.amdhsa_exception_fp_ieee_invalid_op 0
		.amdhsa_exception_fp_denorm_src 0
		.amdhsa_exception_fp_ieee_div_zero 0
		.amdhsa_exception_fp_ieee_overflow 0
		.amdhsa_exception_fp_ieee_underflow 0
		.amdhsa_exception_fp_ieee_inexact 0
		.amdhsa_exception_int_div_zero 0
	.end_amdhsa_kernel
	.section	.text._ZN7rocprim17ROCPRIM_304000_NS6detail16transform_kernelINS1_24wrapped_transform_configINS0_14default_configEN2at4cuda3cub6detail10OpaqueTypeILi1EEEEESA_PKSA_PSA_NS0_8identityISA_EEEEvT1_mT2_T3_,"axG",@progbits,_ZN7rocprim17ROCPRIM_304000_NS6detail16transform_kernelINS1_24wrapped_transform_configINS0_14default_configEN2at4cuda3cub6detail10OpaqueTypeILi1EEEEESA_PKSA_PSA_NS0_8identityISA_EEEEvT1_mT2_T3_,comdat
.Lfunc_end13:
	.size	_ZN7rocprim17ROCPRIM_304000_NS6detail16transform_kernelINS1_24wrapped_transform_configINS0_14default_configEN2at4cuda3cub6detail10OpaqueTypeILi1EEEEESA_PKSA_PSA_NS0_8identityISA_EEEEvT1_mT2_T3_, .Lfunc_end13-_ZN7rocprim17ROCPRIM_304000_NS6detail16transform_kernelINS1_24wrapped_transform_configINS0_14default_configEN2at4cuda3cub6detail10OpaqueTypeILi1EEEEESA_PKSA_PSA_NS0_8identityISA_EEEEvT1_mT2_T3_
                                        ; -- End function
	.set _ZN7rocprim17ROCPRIM_304000_NS6detail16transform_kernelINS1_24wrapped_transform_configINS0_14default_configEN2at4cuda3cub6detail10OpaqueTypeILi1EEEEESA_PKSA_PSA_NS0_8identityISA_EEEEvT1_mT2_T3_.num_vgpr, 14
	.set _ZN7rocprim17ROCPRIM_304000_NS6detail16transform_kernelINS1_24wrapped_transform_configINS0_14default_configEN2at4cuda3cub6detail10OpaqueTypeILi1EEEEESA_PKSA_PSA_NS0_8identityISA_EEEEvT1_mT2_T3_.num_agpr, 0
	.set _ZN7rocprim17ROCPRIM_304000_NS6detail16transform_kernelINS1_24wrapped_transform_configINS0_14default_configEN2at4cuda3cub6detail10OpaqueTypeILi1EEEEESA_PKSA_PSA_NS0_8identityISA_EEEEvT1_mT2_T3_.numbered_sgpr, 19
	.set _ZN7rocprim17ROCPRIM_304000_NS6detail16transform_kernelINS1_24wrapped_transform_configINS0_14default_configEN2at4cuda3cub6detail10OpaqueTypeILi1EEEEESA_PKSA_PSA_NS0_8identityISA_EEEEvT1_mT2_T3_.num_named_barrier, 0
	.set _ZN7rocprim17ROCPRIM_304000_NS6detail16transform_kernelINS1_24wrapped_transform_configINS0_14default_configEN2at4cuda3cub6detail10OpaqueTypeILi1EEEEESA_PKSA_PSA_NS0_8identityISA_EEEEvT1_mT2_T3_.private_seg_size, 0
	.set _ZN7rocprim17ROCPRIM_304000_NS6detail16transform_kernelINS1_24wrapped_transform_configINS0_14default_configEN2at4cuda3cub6detail10OpaqueTypeILi1EEEEESA_PKSA_PSA_NS0_8identityISA_EEEEvT1_mT2_T3_.uses_vcc, 1
	.set _ZN7rocprim17ROCPRIM_304000_NS6detail16transform_kernelINS1_24wrapped_transform_configINS0_14default_configEN2at4cuda3cub6detail10OpaqueTypeILi1EEEEESA_PKSA_PSA_NS0_8identityISA_EEEEvT1_mT2_T3_.uses_flat_scratch, 0
	.set _ZN7rocprim17ROCPRIM_304000_NS6detail16transform_kernelINS1_24wrapped_transform_configINS0_14default_configEN2at4cuda3cub6detail10OpaqueTypeILi1EEEEESA_PKSA_PSA_NS0_8identityISA_EEEEvT1_mT2_T3_.has_dyn_sized_stack, 0
	.set _ZN7rocprim17ROCPRIM_304000_NS6detail16transform_kernelINS1_24wrapped_transform_configINS0_14default_configEN2at4cuda3cub6detail10OpaqueTypeILi1EEEEESA_PKSA_PSA_NS0_8identityISA_EEEEvT1_mT2_T3_.has_recursion, 0
	.set _ZN7rocprim17ROCPRIM_304000_NS6detail16transform_kernelINS1_24wrapped_transform_configINS0_14default_configEN2at4cuda3cub6detail10OpaqueTypeILi1EEEEESA_PKSA_PSA_NS0_8identityISA_EEEEvT1_mT2_T3_.has_indirect_call, 0
	.section	.AMDGPU.csdata,"",@progbits
; Kernel info:
; codeLenInByte = 832
; TotalNumSgprs: 25
; NumVgprs: 14
; NumAgprs: 0
; TotalNumVgprs: 14
; ScratchSize: 0
; MemoryBound: 0
; FloatMode: 240
; IeeeMode: 1
; LDSByteSize: 0 bytes/workgroup (compile time only)
; SGPRBlocks: 3
; VGPRBlocks: 1
; NumSGPRsForWavesPerEU: 25
; NumVGPRsForWavesPerEU: 14
; AccumOffset: 16
; Occupancy: 8
; WaveLimiterHint : 1
; COMPUTE_PGM_RSRC2:SCRATCH_EN: 0
; COMPUTE_PGM_RSRC2:USER_SGPR: 2
; COMPUTE_PGM_RSRC2:TRAP_HANDLER: 0
; COMPUTE_PGM_RSRC2:TGID_X_EN: 1
; COMPUTE_PGM_RSRC2:TGID_Y_EN: 0
; COMPUTE_PGM_RSRC2:TGID_Z_EN: 0
; COMPUTE_PGM_RSRC2:TIDIG_COMP_CNT: 0
; COMPUTE_PGM_RSRC3_GFX90A:ACCUM_OFFSET: 3
; COMPUTE_PGM_RSRC3_GFX90A:TG_SPLIT: 0
	.section	.text._ZN7rocprim17ROCPRIM_304000_NS6detail25onesweep_iteration_kernelINS1_34wrapped_radix_sort_onesweep_configINS0_14default_configEiN2at4cuda3cub6detail10OpaqueTypeILi1EEEEELb1EPKiPiPKSA_PSA_mNS0_19identity_decomposerEEEvT1_T2_T3_T4_jPT5_SO_PNS1_23onesweep_lookback_stateET6_jjj,"axG",@progbits,_ZN7rocprim17ROCPRIM_304000_NS6detail25onesweep_iteration_kernelINS1_34wrapped_radix_sort_onesweep_configINS0_14default_configEiN2at4cuda3cub6detail10OpaqueTypeILi1EEEEELb1EPKiPiPKSA_PSA_mNS0_19identity_decomposerEEEvT1_T2_T3_T4_jPT5_SO_PNS1_23onesweep_lookback_stateET6_jjj,comdat
	.protected	_ZN7rocprim17ROCPRIM_304000_NS6detail25onesweep_iteration_kernelINS1_34wrapped_radix_sort_onesweep_configINS0_14default_configEiN2at4cuda3cub6detail10OpaqueTypeILi1EEEEELb1EPKiPiPKSA_PSA_mNS0_19identity_decomposerEEEvT1_T2_T3_T4_jPT5_SO_PNS1_23onesweep_lookback_stateET6_jjj ; -- Begin function _ZN7rocprim17ROCPRIM_304000_NS6detail25onesweep_iteration_kernelINS1_34wrapped_radix_sort_onesweep_configINS0_14default_configEiN2at4cuda3cub6detail10OpaqueTypeILi1EEEEELb1EPKiPiPKSA_PSA_mNS0_19identity_decomposerEEEvT1_T2_T3_T4_jPT5_SO_PNS1_23onesweep_lookback_stateET6_jjj
	.globl	_ZN7rocprim17ROCPRIM_304000_NS6detail25onesweep_iteration_kernelINS1_34wrapped_radix_sort_onesweep_configINS0_14default_configEiN2at4cuda3cub6detail10OpaqueTypeILi1EEEEELb1EPKiPiPKSA_PSA_mNS0_19identity_decomposerEEEvT1_T2_T3_T4_jPT5_SO_PNS1_23onesweep_lookback_stateET6_jjj
	.p2align	8
	.type	_ZN7rocprim17ROCPRIM_304000_NS6detail25onesweep_iteration_kernelINS1_34wrapped_radix_sort_onesweep_configINS0_14default_configEiN2at4cuda3cub6detail10OpaqueTypeILi1EEEEELb1EPKiPiPKSA_PSA_mNS0_19identity_decomposerEEEvT1_T2_T3_T4_jPT5_SO_PNS1_23onesweep_lookback_stateET6_jjj,@function
_ZN7rocprim17ROCPRIM_304000_NS6detail25onesweep_iteration_kernelINS1_34wrapped_radix_sort_onesweep_configINS0_14default_configEiN2at4cuda3cub6detail10OpaqueTypeILi1EEEEELb1EPKiPiPKSA_PSA_mNS0_19identity_decomposerEEEvT1_T2_T3_T4_jPT5_SO_PNS1_23onesweep_lookback_stateET6_jjj: ; @_ZN7rocprim17ROCPRIM_304000_NS6detail25onesweep_iteration_kernelINS1_34wrapped_radix_sort_onesweep_configINS0_14default_configEiN2at4cuda3cub6detail10OpaqueTypeILi1EEEEELb1EPKiPiPKSA_PSA_mNS0_19identity_decomposerEEEvT1_T2_T3_T4_jPT5_SO_PNS1_23onesweep_lookback_stateET6_jjj
; %bb.0:
	s_load_dwordx8 s[92:99], s[0:1], 0x0
	s_load_dwordx4 s[8:11], s[0:1], 0x44
	s_load_dwordx4 s[4:7], s[0:1], 0x28
                                        ; implicit-def: $vgpr104 : SGPR spill to VGPR lane
	s_load_dwordx2 s[90:91], s[0:1], 0x38
	s_mov_b32 s3, s2
	v_mbcnt_lo_u32_b32 v1, -1, 0
	s_waitcnt lgkmcnt(0)
	s_cmp_ge_u32 s2, s10
	v_writelane_b32 v104, s4, 0
	s_nop 1
	v_writelane_b32 v104, s5, 1
	v_writelane_b32 v104, s6, 2
	;; [unrolled: 1-line block ×3, first 2 shown]
	s_mov_b64 s[4:5], -1
	s_mul_i32 s6, s2, 0x1600
	s_cbranch_scc0 .LBB14_284
; %bb.1:
	s_load_dword s11, s[0:1], 0x20
	s_mulk_i32 s10, 0xea00
	s_mov_b32 s7, 0
	s_lshl_b64 s[4:5], s[6:7], 2
	v_mbcnt_hi_u32_b32 v4, -1, v1
	s_waitcnt lgkmcnt(0)
	s_add_i32 s7, s10, s11
	s_add_u32 s4, s92, s4
	v_and_b32_e32 v7, 0xc0, v0
	v_mov_b32_e32 v5, 0
	s_addc_u32 s5, s93, s5
	v_mul_u32_u24_e32 v6, 22, v7
	v_lshlrev_b32_e32 v8, 2, v4
	v_mov_b32_e32 v9, v5
	v_lshl_add_u64 v[8:9], s[4:5], 0, v[8:9]
	v_lshlrev_b32_e32 v10, 2, v6
	v_mov_b32_e32 v11, v5
	v_mov_b32_e32 v3, -1
	v_lshl_add_u64 v[8:9], v[8:9], 0, v[10:11]
	v_or_b32_e32 v10, v4, v6
	v_mov_b32_e32 v12, -1
	v_cmp_gt_u32_e64 s[10:11], s7, v10
	s_mov_b64 s[4:5], exec
	s_nop 0
	v_writelane_b32 v104, s10, 4
	s_nop 1
	v_writelane_b32 v104, s11, 5
	s_and_b64 s[10:11], s[4:5], s[10:11]
	s_mov_b64 exec, s[10:11]
	s_cbranch_execz .LBB14_3
; %bb.2:
	global_load_dword v2, v[8:9], off
	s_waitcnt vmcnt(0)
	v_xor_b32_e32 v12, 0x7fffffff, v2
.LBB14_3:
	s_or_b64 exec, exec, s[4:5]
	v_add_u32_e32 v2, 64, v10
	v_cmp_gt_u32_e64 s[10:11], s7, v2
	s_mov_b64 s[4:5], exec
	s_nop 0
	v_writelane_b32 v104, s10, 6
	s_nop 1
	v_writelane_b32 v104, s11, 7
	s_and_b64 s[10:11], s[4:5], s[10:11]
	s_mov_b64 exec, s[10:11]
	s_cbranch_execz .LBB14_5
; %bb.4:
	global_load_dword v2, v[8:9], off offset:256
	s_waitcnt vmcnt(0)
	v_xor_b32_e32 v3, 0x7fffffff, v2
.LBB14_5:
	s_or_b64 exec, exec, s[4:5]
	v_add_u32_e32 v2, 0x80, v10
	v_mov_b32_e32 v13, -1
	v_mov_b32_e32 v14, -1
	v_cmp_gt_u32_e64 s[10:11], s7, v2
	s_mov_b64 s[4:5], exec
	s_nop 0
	v_writelane_b32 v104, s10, 8
	s_nop 1
	v_writelane_b32 v104, s11, 9
	s_and_b64 s[10:11], s[4:5], s[10:11]
	s_mov_b64 exec, s[10:11]
	s_cbranch_execz .LBB14_7
; %bb.6:
	global_load_dword v2, v[8:9], off offset:512
	s_waitcnt vmcnt(0)
	v_xor_b32_e32 v14, 0x7fffffff, v2
.LBB14_7:
	s_or_b64 exec, exec, s[4:5]
	v_add_u32_e32 v2, 0xc0, v10
	v_cmp_gt_u32_e64 s[10:11], s7, v2
	s_mov_b64 s[4:5], exec
	s_nop 0
	v_writelane_b32 v104, s10, 10
	s_nop 1
	v_writelane_b32 v104, s11, 11
	s_and_b64 s[10:11], s[4:5], s[10:11]
	s_mov_b64 exec, s[10:11]
	s_cbranch_execz .LBB14_9
; %bb.8:
	global_load_dword v2, v[8:9], off offset:768
	s_waitcnt vmcnt(0)
	v_xor_b32_e32 v13, 0x7fffffff, v2
.LBB14_9:
	s_or_b64 exec, exec, s[4:5]
	v_add_u32_e32 v2, 0x100, v10
	v_cmp_gt_u32_e64 s[4:5], s7, v2
	v_mov_b32_e32 v15, -1
	v_mov_b32_e32 v16, -1
	v_writelane_b32 v104, s4, 12
	s_nop 1
	v_writelane_b32 v104, s5, 13
	s_and_saveexec_b64 s[10:11], s[4:5]
	s_cbranch_execz .LBB14_11
; %bb.10:
	global_load_dword v2, v[8:9], off offset:1024
	s_waitcnt vmcnt(0)
	v_xor_b32_e32 v16, 0x7fffffff, v2
.LBB14_11:
	s_or_b64 exec, exec, s[10:11]
	v_add_u32_e32 v2, 0x140, v10
	v_cmp_gt_u32_e64 s[4:5], s7, v2
	s_nop 1
	v_writelane_b32 v104, s4, 14
	s_nop 1
	v_writelane_b32 v104, s5, 15
	s_and_saveexec_b64 s[10:11], s[4:5]
	s_cbranch_execz .LBB14_13
; %bb.12:
	global_load_dword v2, v[8:9], off offset:1280
	s_waitcnt vmcnt(0)
	v_xor_b32_e32 v15, 0x7fffffff, v2
.LBB14_13:
	s_or_b64 exec, exec, s[10:11]
	v_add_u32_e32 v2, 0x180, v10
	v_cmp_gt_u32_e64 s[14:15], s7, v2
	v_mov_b32_e32 v17, -1
	v_mov_b32_e32 v18, -1
	s_and_saveexec_b64 s[10:11], s[14:15]
	s_cbranch_execz .LBB14_15
; %bb.14:
	global_load_dword v2, v[8:9], off offset:1536
	s_waitcnt vmcnt(0)
	v_xor_b32_e32 v18, 0x7fffffff, v2
.LBB14_15:
	s_or_b64 exec, exec, s[10:11]
	v_add_u32_e32 v2, 0x1c0, v10
	v_cmp_gt_u32_e64 s[16:17], s7, v2
	s_and_saveexec_b64 s[10:11], s[16:17]
	s_cbranch_execz .LBB14_17
; %bb.16:
	global_load_dword v2, v[8:9], off offset:1792
	s_waitcnt vmcnt(0)
	v_xor_b32_e32 v17, 0x7fffffff, v2
.LBB14_17:
	s_or_b64 exec, exec, s[10:11]
	v_add_u32_e32 v2, 0x200, v10
	v_cmp_gt_u32_e64 s[18:19], s7, v2
	v_mov_b32_e32 v19, -1
	v_mov_b32_e32 v20, -1
	s_and_saveexec_b64 s[10:11], s[18:19]
	s_cbranch_execz .LBB14_19
; %bb.18:
	global_load_dword v2, v[8:9], off offset:2048
	s_waitcnt vmcnt(0)
	v_xor_b32_e32 v20, 0x7fffffff, v2
.LBB14_19:
	s_or_b64 exec, exec, s[10:11]
	v_add_u32_e32 v2, 0x240, v10
	v_cmp_gt_u32_e64 s[20:21], s7, v2
	;; [unrolled: 22-line block ×5, first 2 shown]
	s_and_saveexec_b64 s[10:11], s[34:35]
	s_cbranch_execz .LBB14_33
; %bb.32:
	global_load_dword v2, v[8:9], off offset:3840
	s_waitcnt vmcnt(0)
	v_xor_b32_e32 v25, 0x7fffffff, v2
.LBB14_33:
	s_or_b64 exec, exec, s[10:11]
	v_add_u32_e32 v2, 0x400, v10
	v_cmp_gt_u32_e64 s[36:37], s7, v2
	v_mov_b32_e32 v27, -1
	v_mov_b32_e32 v28, -1
	s_and_saveexec_b64 s[10:11], s[36:37]
	s_cbranch_execz .LBB14_35
; %bb.34:
	v_add_co_u32_e32 v28, vcc, 0x1000, v8
	s_nop 1
	v_addc_co_u32_e32 v29, vcc, 0, v9, vcc
	global_load_dword v2, v[28:29], off
	s_waitcnt vmcnt(0)
	v_xor_b32_e32 v28, 0x7fffffff, v2
.LBB14_35:
	s_or_b64 exec, exec, s[10:11]
	v_add_u32_e32 v2, 0x440, v10
	v_cmp_gt_u32_e64 s[38:39], s7, v2
	s_and_saveexec_b64 s[10:11], s[38:39]
	s_cbranch_execz .LBB14_37
; %bb.36:
	v_add_co_u32_e32 v30, vcc, 0x1000, v8
	s_nop 1
	v_addc_co_u32_e32 v31, vcc, 0, v9, vcc
	global_load_dword v2, v[30:31], off offset:256
	s_waitcnt vmcnt(0)
	v_xor_b32_e32 v27, 0x7fffffff, v2
.LBB14_37:
	s_or_b64 exec, exec, s[10:11]
	v_add_u32_e32 v2, 0x480, v10
	v_cmp_gt_u32_e64 s[40:41], s7, v2
	v_mov_b32_e32 v29, -1
	v_mov_b32_e32 v30, -1
	s_and_saveexec_b64 s[10:11], s[40:41]
	s_cbranch_execz .LBB14_39
; %bb.38:
	v_add_co_u32_e32 v30, vcc, 0x1000, v8
	s_nop 1
	v_addc_co_u32_e32 v31, vcc, 0, v9, vcc
	global_load_dword v2, v[30:31], off offset:512
	s_waitcnt vmcnt(0)
	v_xor_b32_e32 v30, 0x7fffffff, v2
.LBB14_39:
	s_or_b64 exec, exec, s[10:11]
	v_add_u32_e32 v2, 0x4c0, v10
	v_cmp_gt_u32_e64 s[42:43], s7, v2
	s_and_saveexec_b64 s[10:11], s[42:43]
	s_cbranch_execz .LBB14_41
; %bb.40:
	v_add_co_u32_e32 v32, vcc, 0x1000, v8
	s_nop 1
	v_addc_co_u32_e32 v33, vcc, 0, v9, vcc
	global_load_dword v2, v[32:33], off offset:768
	s_waitcnt vmcnt(0)
	v_xor_b32_e32 v29, 0x7fffffff, v2
.LBB14_41:
	s_or_b64 exec, exec, s[10:11]
	v_add_u32_e32 v2, 0x500, v10
	v_cmp_gt_u32_e64 s[44:45], s7, v2
	v_mov_b32_e32 v31, -1
	v_mov_b32_e32 v32, -1
	s_and_saveexec_b64 s[10:11], s[44:45]
	s_cbranch_execz .LBB14_43
; %bb.42:
	v_add_co_u32_e32 v32, vcc, 0x1000, v8
	s_nop 1
	v_addc_co_u32_e32 v33, vcc, 0, v9, vcc
	global_load_dword v2, v[32:33], off offset:1024
	s_waitcnt vmcnt(0)
	v_xor_b32_e32 v32, 0x7fffffff, v2
.LBB14_43:
	s_or_b64 exec, exec, s[10:11]
	v_add_u32_e32 v10, 0x540, v10
	v_and_b32_e32 v2, 0x3ff, v0
	v_cmp_gt_u32_e64 s[46:47], s7, v10
	s_and_saveexec_b64 s[10:11], s[46:47]
	s_cbranch_execz .LBB14_45
; %bb.44:
	v_add_co_u32_e32 v8, vcc, 0x1000, v8
	s_nop 1
	v_addc_co_u32_e32 v9, vcc, 0, v9, vcc
	global_load_dword v8, v[8:9], off offset:1280
	s_waitcnt vmcnt(0)
	v_xor_b32_e32 v31, 0x7fffffff, v8
.LBB14_45:
	s_or_b64 exec, exec, s[10:11]
	s_load_dword s4, s[0:1], 0x5c
	s_load_dword s10, s[0:1], 0x50
	s_add_u32 s5, s0, 0x50
	s_addc_u32 s11, s1, 0
	v_mov_b32_e32 v9, 0
	s_waitcnt lgkmcnt(0)
	s_lshr_b32 s4, s4, 16
	s_cmp_lt_u32 s2, s10
	s_cselect_b32 s10, 12, 18
	s_add_u32 s10, s5, s10
	s_addc_u32 s11, s11, 0
	global_load_ushort v48, v9, s[10:11]
	v_bfe_u32 v8, v0, 10, 10
	v_bfe_u32 v11, v0, 20, 10
	v_lshrrev_b32_e32 v35, s8, v12
	v_mad_u32_u24 v49, v11, s4, v8
	s_lshl_b32 s4, -1, s9
	v_bitop3_b32 v45, v35, s4, v35 bitop3:0x30
	v_and_b32_e32 v8, 1, v45
	v_lshlrev_b32_e32 v11, 30, v45
	v_mov_b32_e32 v10, v9
	v_mov_b32_e32 v36, v9
	v_lshlrev_b32_e32 v35, 29, v45
	v_lshlrev_b32_e32 v37, 28, v45
	v_lshl_add_u64 v[46:47], v[8:9], 0, -1
	v_cmp_ne_u32_e32 vcc, 0, v8
	v_not_b32_e32 v8, v11
	v_mov_b32_e32 v34, v9
	v_mov_b32_e32 v38, v9
	v_lshlrev_b32_e32 v39, 27, v45
	v_cmp_gt_i64_e64 s[48:49], 0, v[10:11]
	v_not_b32_e32 v10, v35
	v_cmp_gt_i64_e64 s[52:53], 0, v[36:37]
	v_not_b32_e32 v11, v37
	v_xor_b32_e32 v37, vcc_hi, v47
	v_ashrrev_i32_e32 v8, 31, v8
	v_mov_b32_e32 v40, v9
	v_lshlrev_b32_e32 v41, 26, v45
	v_cmp_gt_i64_e64 s[50:51], 0, v[34:35]
	v_cmp_gt_i64_e64 s[54:55], 0, v[38:39]
	v_not_b32_e32 v34, v39
	v_xor_b32_e32 v38, vcc_lo, v46
	v_ashrrev_i32_e32 v10, 31, v10
	v_and_b32_e32 v37, exec_hi, v37
	v_xor_b32_e32 v39, s49, v8
	v_cmp_gt_i64_e64 s[56:57], 0, v[40:41]
	v_ashrrev_i32_e32 v11, 31, v11
	v_and_b32_e32 v38, exec_lo, v38
	v_xor_b32_e32 v8, s48, v8
	v_xor_b32_e32 v40, s51, v10
	v_and_b32_e32 v37, v37, v39
	v_mov_b32_e32 v42, v9
	v_lshlrev_b32_e32 v43, 25, v45
	v_not_b32_e32 v35, v41
	v_ashrrev_i32_e32 v34, 31, v34
	v_xor_b32_e32 v10, s50, v10
	v_xor_b32_e32 v41, s53, v11
	v_and_b32_e32 v8, v38, v8
	v_and_b32_e32 v37, v37, v40
	v_cmp_gt_i64_e64 s[58:59], 0, v[42:43]
	v_not_b32_e32 v36, v43
	v_ashrrev_i32_e32 v35, 31, v35
	v_xor_b32_e32 v42, s55, v34
	v_and_b32_e32 v8, v8, v10
	v_and_b32_e32 v10, v37, v41
	v_ashrrev_i32_e32 v36, 31, v36
	v_xor_b32_e32 v11, s52, v11
	v_xor_b32_e32 v43, s57, v35
	v_and_b32_e32 v10, v10, v42
	v_xor_b32_e32 v34, s54, v34
	v_xor_b32_e32 v46, s59, v36
	v_and_b32_e32 v8, v8, v11
	v_and_b32_e32 v10, v10, v43
	v_mul_lo_u32 v50, v45, 20
	v_lshlrev_b32_e32 v45, 24, v45
	v_and_b32_e32 v8, v8, v34
	v_and_b32_e32 v34, v10, v46
	v_mov_b32_e32 v44, v9
	v_xor_b32_e32 v35, s56, v35
	v_xor_b32_e32 v36, s58, v36
	v_and_b32_e32 v8, v8, v35
	v_cmp_gt_i64_e32 vcc, 0, v[44:45]
	v_and_b32_e32 v8, v8, v36
	v_mul_u32_u24_e32 v33, 20, v2
	s_not_b32 s33, s4
	ds_write2_b32 v33, v9, v9 offset0:4 offset1:5
	ds_write2_b32 v33, v9, v9 offset0:6 offset1:7
	ds_write_b32 v33, v9 offset:32
	s_waitcnt lgkmcnt(0)
	s_barrier
	s_waitcnt vmcnt(0)
	; wave barrier
	v_mad_u64_u32 v[10:11], s[10:11], v49, v48, v[2:3]
	v_lshrrev_b32_e32 v43, 6, v10
	v_not_b32_e32 v10, v45
	v_ashrrev_i32_e32 v10, 31, v10
	v_xor_b32_e32 v11, vcc_hi, v10
	v_xor_b32_e32 v10, vcc_lo, v10
	v_and_b32_e32 v10, v8, v10
	v_and_b32_e32 v11, v34, v11
	v_mbcnt_lo_u32_b32 v8, v10, 0
	v_mbcnt_hi_u32_b32 v34, v11, v8
	v_cmp_eq_u32_e32 vcc, 0, v34
	v_cmp_ne_u64_e64 s[48:49], 0, v[10:11]
	v_lshl_add_u32 v35, v43, 2, v50
	s_and_b64 s[48:49], s[48:49], vcc
	s_and_saveexec_b64 s[10:11], s[48:49]
; %bb.46:
	v_bcnt_u32_b32 v8, v10, 0
	v_bcnt_u32_b32 v8, v11, v8
	ds_write_b32 v35, v8 offset:16
; %bb.47:
	s_or_b64 exec, exec, s[10:11]
	v_lshrrev_b32_e32 v8, s8, v3
	v_and_b32_e32 v38, s33, v8
	v_mul_lo_u32 v8, v38, 20
	v_lshl_add_u32 v37, v43, 2, v8
	v_and_b32_e32 v8, 1, v38
	v_lshl_add_u64 v[10:11], v[8:9], 0, -1
	v_cmp_ne_u32_e32 vcc, 0, v8
	; wave barrier
	s_nop 1
	v_xor_b32_e32 v10, vcc_lo, v10
	v_xor_b32_e32 v8, vcc_hi, v11
	v_and_b32_e32 v39, exec_lo, v10
	v_lshlrev_b32_e32 v11, 30, v38
	v_mov_b32_e32 v10, v9
	v_cmp_gt_i64_e32 vcc, 0, v[10:11]
	v_not_b32_e32 v10, v11
	v_ashrrev_i32_e32 v10, 31, v10
	v_and_b32_e32 v8, exec_hi, v8
	v_xor_b32_e32 v11, vcc_hi, v10
	v_xor_b32_e32 v10, vcc_lo, v10
	v_and_b32_e32 v8, v8, v11
	v_and_b32_e32 v39, v39, v10
	v_lshlrev_b32_e32 v11, 29, v38
	v_mov_b32_e32 v10, v9
	v_cmp_gt_i64_e32 vcc, 0, v[10:11]
	v_not_b32_e32 v10, v11
	v_ashrrev_i32_e32 v10, 31, v10
	v_xor_b32_e32 v11, vcc_hi, v10
	v_xor_b32_e32 v10, vcc_lo, v10
	v_and_b32_e32 v8, v8, v11
	v_and_b32_e32 v39, v39, v10
	v_lshlrev_b32_e32 v11, 28, v38
	v_mov_b32_e32 v10, v9
	v_cmp_gt_i64_e32 vcc, 0, v[10:11]
	v_not_b32_e32 v10, v11
	v_ashrrev_i32_e32 v10, 31, v10
	;; [unrolled: 9-line block ×5, first 2 shown]
	v_xor_b32_e32 v11, vcc_hi, v10
	v_xor_b32_e32 v10, vcc_lo, v10
	v_and_b32_e32 v8, v8, v11
	v_lshlrev_b32_e32 v11, 24, v38
	v_and_b32_e32 v39, v39, v10
	v_mov_b32_e32 v10, v9
	v_not_b32_e32 v9, v11
	v_cmp_gt_i64_e32 vcc, 0, v[10:11]
	v_ashrrev_i32_e32 v9, 31, v9
	ds_read_b32 v36, v37 offset:16
	v_xor_b32_e32 v10, vcc_hi, v9
	v_xor_b32_e32 v11, vcc_lo, v9
	v_and_b32_e32 v9, v8, v10
	v_and_b32_e32 v8, v39, v11
	v_mbcnt_lo_u32_b32 v10, v8, 0
	v_mbcnt_hi_u32_b32 v38, v9, v10
	v_cmp_eq_u32_e32 vcc, 0, v38
	v_cmp_ne_u64_e64 s[48:49], 0, v[8:9]
	s_and_b64 s[48:49], s[48:49], vcc
	; wave barrier
	s_and_saveexec_b64 s[10:11], s[48:49]
	s_cbranch_execz .LBB14_49
; %bb.48:
	v_bcnt_u32_b32 v8, v8, 0
	v_bcnt_u32_b32 v8, v9, v8
	s_waitcnt lgkmcnt(0)
	v_add_u32_e32 v8, v36, v8
	ds_write_b32 v37, v8 offset:16
.LBB14_49:
	s_or_b64 exec, exec, s[10:11]
	v_lshrrev_b32_e32 v8, s8, v14
	v_and_b32_e32 v41, s33, v8
	v_mul_lo_u32 v8, v41, 20
	v_lshl_add_u32 v40, v43, 2, v8
	v_and_b32_e32 v8, 1, v41
	v_mov_b32_e32 v9, 0
	v_lshl_add_u64 v[10:11], v[8:9], 0, -1
	v_cmp_ne_u32_e32 vcc, 0, v8
	; wave barrier
	s_nop 1
	v_xor_b32_e32 v10, vcc_lo, v10
	v_xor_b32_e32 v8, vcc_hi, v11
	v_and_b32_e32 v42, exec_lo, v10
	v_lshlrev_b32_e32 v11, 30, v41
	v_mov_b32_e32 v10, v9
	v_cmp_gt_i64_e32 vcc, 0, v[10:11]
	v_not_b32_e32 v10, v11
	v_ashrrev_i32_e32 v10, 31, v10
	v_and_b32_e32 v8, exec_hi, v8
	v_xor_b32_e32 v11, vcc_hi, v10
	v_xor_b32_e32 v10, vcc_lo, v10
	v_and_b32_e32 v8, v8, v11
	v_and_b32_e32 v42, v42, v10
	v_lshlrev_b32_e32 v11, 29, v41
	v_mov_b32_e32 v10, v9
	v_cmp_gt_i64_e32 vcc, 0, v[10:11]
	v_not_b32_e32 v10, v11
	v_ashrrev_i32_e32 v10, 31, v10
	v_xor_b32_e32 v11, vcc_hi, v10
	v_xor_b32_e32 v10, vcc_lo, v10
	v_and_b32_e32 v8, v8, v11
	v_and_b32_e32 v42, v42, v10
	v_lshlrev_b32_e32 v11, 28, v41
	v_mov_b32_e32 v10, v9
	v_cmp_gt_i64_e32 vcc, 0, v[10:11]
	v_not_b32_e32 v10, v11
	v_ashrrev_i32_e32 v10, 31, v10
	;; [unrolled: 9-line block ×6, first 2 shown]
	v_xor_b32_e32 v11, vcc_hi, v10
	v_xor_b32_e32 v10, vcc_lo, v10
	ds_read_b32 v39, v40 offset:16
	v_and_b32_e32 v10, v42, v10
	v_and_b32_e32 v11, v8, v11
	v_mbcnt_lo_u32_b32 v8, v10, 0
	v_mbcnt_hi_u32_b32 v41, v11, v8
	v_cmp_eq_u32_e32 vcc, 0, v41
	v_cmp_ne_u64_e64 s[48:49], 0, v[10:11]
	s_and_b64 s[48:49], s[48:49], vcc
	; wave barrier
	s_and_saveexec_b64 s[10:11], s[48:49]
	s_cbranch_execz .LBB14_51
; %bb.50:
	v_bcnt_u32_b32 v8, v10, 0
	v_bcnt_u32_b32 v8, v11, v8
	s_waitcnt lgkmcnt(0)
	v_add_u32_e32 v8, v39, v8
	ds_write_b32 v40, v8 offset:16
.LBB14_51:
	s_or_b64 exec, exec, s[10:11]
	v_lshrrev_b32_e32 v8, s8, v13
	v_and_b32_e32 v45, s33, v8
	v_mul_lo_u32 v8, v45, 20
	v_lshl_add_u32 v44, v43, 2, v8
	v_and_b32_e32 v8, 1, v45
	v_lshl_add_u64 v[10:11], v[8:9], 0, -1
	v_cmp_ne_u32_e32 vcc, 0, v8
	; wave barrier
	s_nop 1
	v_xor_b32_e32 v10, vcc_lo, v10
	v_xor_b32_e32 v8, vcc_hi, v11
	v_and_b32_e32 v46, exec_lo, v10
	v_lshlrev_b32_e32 v11, 30, v45
	v_mov_b32_e32 v10, v9
	v_cmp_gt_i64_e32 vcc, 0, v[10:11]
	v_not_b32_e32 v10, v11
	v_ashrrev_i32_e32 v10, 31, v10
	v_and_b32_e32 v8, exec_hi, v8
	v_xor_b32_e32 v11, vcc_hi, v10
	v_xor_b32_e32 v10, vcc_lo, v10
	v_and_b32_e32 v8, v8, v11
	v_and_b32_e32 v46, v46, v10
	v_lshlrev_b32_e32 v11, 29, v45
	v_mov_b32_e32 v10, v9
	v_cmp_gt_i64_e32 vcc, 0, v[10:11]
	v_not_b32_e32 v10, v11
	v_ashrrev_i32_e32 v10, 31, v10
	v_xor_b32_e32 v11, vcc_hi, v10
	v_xor_b32_e32 v10, vcc_lo, v10
	v_and_b32_e32 v8, v8, v11
	v_and_b32_e32 v46, v46, v10
	v_lshlrev_b32_e32 v11, 28, v45
	v_mov_b32_e32 v10, v9
	v_cmp_gt_i64_e32 vcc, 0, v[10:11]
	v_not_b32_e32 v10, v11
	v_ashrrev_i32_e32 v10, 31, v10
	;; [unrolled: 9-line block ×5, first 2 shown]
	v_xor_b32_e32 v11, vcc_hi, v10
	v_xor_b32_e32 v10, vcc_lo, v10
	v_and_b32_e32 v8, v8, v11
	v_lshlrev_b32_e32 v11, 24, v45
	v_and_b32_e32 v46, v46, v10
	v_mov_b32_e32 v10, v9
	v_not_b32_e32 v9, v11
	v_cmp_gt_i64_e32 vcc, 0, v[10:11]
	v_ashrrev_i32_e32 v9, 31, v9
	ds_read_b32 v42, v44 offset:16
	v_xor_b32_e32 v10, vcc_hi, v9
	v_xor_b32_e32 v11, vcc_lo, v9
	v_and_b32_e32 v9, v8, v10
	v_and_b32_e32 v8, v46, v11
	v_mbcnt_lo_u32_b32 v10, v8, 0
	v_mbcnt_hi_u32_b32 v45, v9, v10
	v_cmp_eq_u32_e32 vcc, 0, v45
	v_cmp_ne_u64_e64 s[48:49], 0, v[8:9]
	s_and_b64 s[48:49], s[48:49], vcc
	; wave barrier
	s_and_saveexec_b64 s[10:11], s[48:49]
	s_cbranch_execz .LBB14_53
; %bb.52:
	v_bcnt_u32_b32 v8, v8, 0
	v_bcnt_u32_b32 v8, v9, v8
	s_waitcnt lgkmcnt(0)
	v_add_u32_e32 v8, v42, v8
	ds_write_b32 v44, v8 offset:16
.LBB14_53:
	s_or_b64 exec, exec, s[10:11]
	v_lshrrev_b32_e32 v8, s8, v16
	v_and_b32_e32 v48, s33, v8
	v_mul_lo_u32 v8, v48, 20
	v_lshl_add_u32 v47, v43, 2, v8
	v_and_b32_e32 v8, 1, v48
	v_mov_b32_e32 v9, 0
	v_lshl_add_u64 v[10:11], v[8:9], 0, -1
	v_cmp_ne_u32_e32 vcc, 0, v8
	; wave barrier
	s_nop 1
	v_xor_b32_e32 v10, vcc_lo, v10
	v_xor_b32_e32 v8, vcc_hi, v11
	v_and_b32_e32 v49, exec_lo, v10
	v_lshlrev_b32_e32 v11, 30, v48
	v_mov_b32_e32 v10, v9
	v_cmp_gt_i64_e32 vcc, 0, v[10:11]
	v_not_b32_e32 v10, v11
	v_ashrrev_i32_e32 v10, 31, v10
	v_and_b32_e32 v8, exec_hi, v8
	v_xor_b32_e32 v11, vcc_hi, v10
	v_xor_b32_e32 v10, vcc_lo, v10
	v_and_b32_e32 v8, v8, v11
	v_and_b32_e32 v49, v49, v10
	v_lshlrev_b32_e32 v11, 29, v48
	v_mov_b32_e32 v10, v9
	v_cmp_gt_i64_e32 vcc, 0, v[10:11]
	v_not_b32_e32 v10, v11
	v_ashrrev_i32_e32 v10, 31, v10
	v_xor_b32_e32 v11, vcc_hi, v10
	v_xor_b32_e32 v10, vcc_lo, v10
	v_and_b32_e32 v8, v8, v11
	v_and_b32_e32 v49, v49, v10
	v_lshlrev_b32_e32 v11, 28, v48
	v_mov_b32_e32 v10, v9
	v_cmp_gt_i64_e32 vcc, 0, v[10:11]
	v_not_b32_e32 v10, v11
	v_ashrrev_i32_e32 v10, 31, v10
	;; [unrolled: 9-line block ×6, first 2 shown]
	v_xor_b32_e32 v11, vcc_hi, v10
	v_xor_b32_e32 v10, vcc_lo, v10
	ds_read_b32 v46, v47 offset:16
	v_and_b32_e32 v10, v49, v10
	v_and_b32_e32 v11, v8, v11
	v_mbcnt_lo_u32_b32 v8, v10, 0
	v_mbcnt_hi_u32_b32 v48, v11, v8
	v_cmp_eq_u32_e32 vcc, 0, v48
	v_cmp_ne_u64_e64 s[48:49], 0, v[10:11]
	s_and_b64 s[48:49], s[48:49], vcc
	; wave barrier
	s_and_saveexec_b64 s[10:11], s[48:49]
	s_cbranch_execz .LBB14_55
; %bb.54:
	v_bcnt_u32_b32 v8, v10, 0
	v_bcnt_u32_b32 v8, v11, v8
	s_waitcnt lgkmcnt(0)
	v_add_u32_e32 v8, v46, v8
	ds_write_b32 v47, v8 offset:16
.LBB14_55:
	s_or_b64 exec, exec, s[10:11]
	v_lshrrev_b32_e32 v8, s8, v15
	v_and_b32_e32 v51, s33, v8
	v_mul_lo_u32 v8, v51, 20
	v_lshl_add_u32 v50, v43, 2, v8
	v_and_b32_e32 v8, 1, v51
	v_lshl_add_u64 v[10:11], v[8:9], 0, -1
	v_cmp_ne_u32_e32 vcc, 0, v8
	; wave barrier
	s_nop 1
	v_xor_b32_e32 v10, vcc_lo, v10
	v_xor_b32_e32 v8, vcc_hi, v11
	v_and_b32_e32 v52, exec_lo, v10
	v_lshlrev_b32_e32 v11, 30, v51
	v_mov_b32_e32 v10, v9
	v_cmp_gt_i64_e32 vcc, 0, v[10:11]
	v_not_b32_e32 v10, v11
	v_ashrrev_i32_e32 v10, 31, v10
	v_and_b32_e32 v8, exec_hi, v8
	v_xor_b32_e32 v11, vcc_hi, v10
	v_xor_b32_e32 v10, vcc_lo, v10
	v_and_b32_e32 v8, v8, v11
	v_and_b32_e32 v52, v52, v10
	v_lshlrev_b32_e32 v11, 29, v51
	v_mov_b32_e32 v10, v9
	v_cmp_gt_i64_e32 vcc, 0, v[10:11]
	v_not_b32_e32 v10, v11
	v_ashrrev_i32_e32 v10, 31, v10
	v_xor_b32_e32 v11, vcc_hi, v10
	v_xor_b32_e32 v10, vcc_lo, v10
	v_and_b32_e32 v8, v8, v11
	v_and_b32_e32 v52, v52, v10
	v_lshlrev_b32_e32 v11, 28, v51
	v_mov_b32_e32 v10, v9
	v_cmp_gt_i64_e32 vcc, 0, v[10:11]
	v_not_b32_e32 v10, v11
	v_ashrrev_i32_e32 v10, 31, v10
	v_xor_b32_e32 v11, vcc_hi, v10
	v_xor_b32_e32 v10, vcc_lo, v10
	v_and_b32_e32 v8, v8, v11
	v_and_b32_e32 v52, v52, v10
	v_lshlrev_b32_e32 v11, 27, v51
	v_mov_b32_e32 v10, v9
	v_cmp_gt_i64_e32 vcc, 0, v[10:11]
	v_not_b32_e32 v10, v11
	v_ashrrev_i32_e32 v10, 31, v10
	v_xor_b32_e32 v11, vcc_hi, v10
	v_xor_b32_e32 v10, vcc_lo, v10
	v_and_b32_e32 v8, v8, v11
	v_and_b32_e32 v52, v52, v10
	v_lshlrev_b32_e32 v11, 26, v51
	v_mov_b32_e32 v10, v9
	v_cmp_gt_i64_e32 vcc, 0, v[10:11]
	v_not_b32_e32 v10, v11
	v_ashrrev_i32_e32 v10, 31, v10
	v_xor_b32_e32 v11, vcc_hi, v10
	v_xor_b32_e32 v10, vcc_lo, v10
	v_and_b32_e32 v8, v8, v11
	v_and_b32_e32 v52, v52, v10
	v_lshlrev_b32_e32 v11, 25, v51
	v_mov_b32_e32 v10, v9
	v_cmp_gt_i64_e32 vcc, 0, v[10:11]
	v_not_b32_e32 v10, v11
	v_ashrrev_i32_e32 v10, 31, v10
	v_xor_b32_e32 v11, vcc_hi, v10
	v_xor_b32_e32 v10, vcc_lo, v10
	v_and_b32_e32 v8, v8, v11
	v_lshlrev_b32_e32 v11, 24, v51
	v_and_b32_e32 v52, v52, v10
	v_mov_b32_e32 v10, v9
	v_not_b32_e32 v9, v11
	v_cmp_gt_i64_e32 vcc, 0, v[10:11]
	v_ashrrev_i32_e32 v9, 31, v9
	ds_read_b32 v49, v50 offset:16
	v_xor_b32_e32 v10, vcc_hi, v9
	v_xor_b32_e32 v11, vcc_lo, v9
	v_and_b32_e32 v9, v8, v10
	v_and_b32_e32 v8, v52, v11
	v_mbcnt_lo_u32_b32 v10, v8, 0
	v_mbcnt_hi_u32_b32 v51, v9, v10
	v_cmp_eq_u32_e32 vcc, 0, v51
	v_cmp_ne_u64_e64 s[48:49], 0, v[8:9]
	s_and_b64 s[48:49], s[48:49], vcc
	; wave barrier
	s_and_saveexec_b64 s[10:11], s[48:49]
	s_cbranch_execz .LBB14_57
; %bb.56:
	v_bcnt_u32_b32 v8, v8, 0
	v_bcnt_u32_b32 v8, v9, v8
	s_waitcnt lgkmcnt(0)
	v_add_u32_e32 v8, v49, v8
	ds_write_b32 v50, v8 offset:16
.LBB14_57:
	s_or_b64 exec, exec, s[10:11]
	v_lshrrev_b32_e32 v8, s8, v18
	v_and_b32_e32 v54, s33, v8
	v_mul_lo_u32 v8, v54, 20
	v_lshl_add_u32 v53, v43, 2, v8
	v_and_b32_e32 v8, 1, v54
	v_mov_b32_e32 v9, 0
	v_lshl_add_u64 v[10:11], v[8:9], 0, -1
	v_cmp_ne_u32_e32 vcc, 0, v8
	; wave barrier
	s_nop 1
	v_xor_b32_e32 v10, vcc_lo, v10
	v_xor_b32_e32 v8, vcc_hi, v11
	v_and_b32_e32 v55, exec_lo, v10
	v_lshlrev_b32_e32 v11, 30, v54
	v_mov_b32_e32 v10, v9
	v_cmp_gt_i64_e32 vcc, 0, v[10:11]
	v_not_b32_e32 v10, v11
	v_ashrrev_i32_e32 v10, 31, v10
	v_and_b32_e32 v8, exec_hi, v8
	v_xor_b32_e32 v11, vcc_hi, v10
	v_xor_b32_e32 v10, vcc_lo, v10
	v_and_b32_e32 v8, v8, v11
	v_and_b32_e32 v55, v55, v10
	v_lshlrev_b32_e32 v11, 29, v54
	v_mov_b32_e32 v10, v9
	v_cmp_gt_i64_e32 vcc, 0, v[10:11]
	v_not_b32_e32 v10, v11
	v_ashrrev_i32_e32 v10, 31, v10
	v_xor_b32_e32 v11, vcc_hi, v10
	v_xor_b32_e32 v10, vcc_lo, v10
	v_and_b32_e32 v8, v8, v11
	v_and_b32_e32 v55, v55, v10
	v_lshlrev_b32_e32 v11, 28, v54
	v_mov_b32_e32 v10, v9
	v_cmp_gt_i64_e32 vcc, 0, v[10:11]
	v_not_b32_e32 v10, v11
	v_ashrrev_i32_e32 v10, 31, v10
	;; [unrolled: 9-line block ×6, first 2 shown]
	v_xor_b32_e32 v11, vcc_hi, v10
	v_xor_b32_e32 v10, vcc_lo, v10
	ds_read_b32 v52, v53 offset:16
	v_and_b32_e32 v10, v55, v10
	v_and_b32_e32 v11, v8, v11
	v_mbcnt_lo_u32_b32 v8, v10, 0
	v_mbcnt_hi_u32_b32 v54, v11, v8
	v_cmp_eq_u32_e32 vcc, 0, v54
	v_cmp_ne_u64_e64 s[48:49], 0, v[10:11]
	s_and_b64 s[48:49], s[48:49], vcc
	; wave barrier
	s_and_saveexec_b64 s[10:11], s[48:49]
	s_cbranch_execz .LBB14_59
; %bb.58:
	v_bcnt_u32_b32 v8, v10, 0
	v_bcnt_u32_b32 v8, v11, v8
	s_waitcnt lgkmcnt(0)
	v_add_u32_e32 v8, v52, v8
	ds_write_b32 v53, v8 offset:16
.LBB14_59:
	s_or_b64 exec, exec, s[10:11]
	v_lshrrev_b32_e32 v8, s8, v17
	v_and_b32_e32 v57, s33, v8
	v_mul_lo_u32 v8, v57, 20
	v_lshl_add_u32 v56, v43, 2, v8
	v_and_b32_e32 v8, 1, v57
	v_lshl_add_u64 v[10:11], v[8:9], 0, -1
	v_cmp_ne_u32_e32 vcc, 0, v8
	; wave barrier
	s_nop 1
	v_xor_b32_e32 v10, vcc_lo, v10
	v_xor_b32_e32 v8, vcc_hi, v11
	v_and_b32_e32 v58, exec_lo, v10
	v_lshlrev_b32_e32 v11, 30, v57
	v_mov_b32_e32 v10, v9
	v_cmp_gt_i64_e32 vcc, 0, v[10:11]
	v_not_b32_e32 v10, v11
	v_ashrrev_i32_e32 v10, 31, v10
	v_and_b32_e32 v8, exec_hi, v8
	v_xor_b32_e32 v11, vcc_hi, v10
	v_xor_b32_e32 v10, vcc_lo, v10
	v_and_b32_e32 v8, v8, v11
	v_and_b32_e32 v58, v58, v10
	v_lshlrev_b32_e32 v11, 29, v57
	v_mov_b32_e32 v10, v9
	v_cmp_gt_i64_e32 vcc, 0, v[10:11]
	v_not_b32_e32 v10, v11
	v_ashrrev_i32_e32 v10, 31, v10
	v_xor_b32_e32 v11, vcc_hi, v10
	v_xor_b32_e32 v10, vcc_lo, v10
	v_and_b32_e32 v8, v8, v11
	v_and_b32_e32 v58, v58, v10
	v_lshlrev_b32_e32 v11, 28, v57
	v_mov_b32_e32 v10, v9
	v_cmp_gt_i64_e32 vcc, 0, v[10:11]
	v_not_b32_e32 v10, v11
	v_ashrrev_i32_e32 v10, 31, v10
	;; [unrolled: 9-line block ×5, first 2 shown]
	v_xor_b32_e32 v11, vcc_hi, v10
	v_xor_b32_e32 v10, vcc_lo, v10
	v_and_b32_e32 v8, v8, v11
	v_lshlrev_b32_e32 v11, 24, v57
	v_and_b32_e32 v58, v58, v10
	v_mov_b32_e32 v10, v9
	v_not_b32_e32 v9, v11
	v_cmp_gt_i64_e32 vcc, 0, v[10:11]
	v_ashrrev_i32_e32 v9, 31, v9
	ds_read_b32 v55, v56 offset:16
	v_xor_b32_e32 v10, vcc_hi, v9
	v_xor_b32_e32 v11, vcc_lo, v9
	v_and_b32_e32 v9, v8, v10
	v_and_b32_e32 v8, v58, v11
	v_mbcnt_lo_u32_b32 v10, v8, 0
	v_mbcnt_hi_u32_b32 v57, v9, v10
	v_cmp_eq_u32_e32 vcc, 0, v57
	v_cmp_ne_u64_e64 s[48:49], 0, v[8:9]
	s_and_b64 s[48:49], s[48:49], vcc
	; wave barrier
	s_and_saveexec_b64 s[10:11], s[48:49]
	s_cbranch_execz .LBB14_61
; %bb.60:
	v_bcnt_u32_b32 v8, v8, 0
	v_bcnt_u32_b32 v8, v9, v8
	s_waitcnt lgkmcnt(0)
	v_add_u32_e32 v8, v55, v8
	ds_write_b32 v56, v8 offset:16
.LBB14_61:
	s_or_b64 exec, exec, s[10:11]
	v_lshrrev_b32_e32 v8, s8, v20
	v_and_b32_e32 v60, s33, v8
	v_mul_lo_u32 v8, v60, 20
	v_lshl_add_u32 v59, v43, 2, v8
	v_and_b32_e32 v8, 1, v60
	v_mov_b32_e32 v9, 0
	v_lshl_add_u64 v[10:11], v[8:9], 0, -1
	v_cmp_ne_u32_e32 vcc, 0, v8
	; wave barrier
	s_nop 1
	v_xor_b32_e32 v10, vcc_lo, v10
	v_xor_b32_e32 v8, vcc_hi, v11
	v_and_b32_e32 v61, exec_lo, v10
	v_lshlrev_b32_e32 v11, 30, v60
	v_mov_b32_e32 v10, v9
	v_cmp_gt_i64_e32 vcc, 0, v[10:11]
	v_not_b32_e32 v10, v11
	v_ashrrev_i32_e32 v10, 31, v10
	v_and_b32_e32 v8, exec_hi, v8
	v_xor_b32_e32 v11, vcc_hi, v10
	v_xor_b32_e32 v10, vcc_lo, v10
	v_and_b32_e32 v8, v8, v11
	v_and_b32_e32 v61, v61, v10
	v_lshlrev_b32_e32 v11, 29, v60
	v_mov_b32_e32 v10, v9
	v_cmp_gt_i64_e32 vcc, 0, v[10:11]
	v_not_b32_e32 v10, v11
	v_ashrrev_i32_e32 v10, 31, v10
	v_xor_b32_e32 v11, vcc_hi, v10
	v_xor_b32_e32 v10, vcc_lo, v10
	v_and_b32_e32 v8, v8, v11
	v_and_b32_e32 v61, v61, v10
	v_lshlrev_b32_e32 v11, 28, v60
	v_mov_b32_e32 v10, v9
	v_cmp_gt_i64_e32 vcc, 0, v[10:11]
	v_not_b32_e32 v10, v11
	v_ashrrev_i32_e32 v10, 31, v10
	;; [unrolled: 9-line block ×6, first 2 shown]
	v_xor_b32_e32 v11, vcc_hi, v10
	v_xor_b32_e32 v10, vcc_lo, v10
	ds_read_b32 v58, v59 offset:16
	v_and_b32_e32 v10, v61, v10
	v_and_b32_e32 v11, v8, v11
	v_mbcnt_lo_u32_b32 v8, v10, 0
	v_mbcnt_hi_u32_b32 v60, v11, v8
	v_cmp_eq_u32_e32 vcc, 0, v60
	v_cmp_ne_u64_e64 s[48:49], 0, v[10:11]
	s_and_b64 s[48:49], s[48:49], vcc
	; wave barrier
	s_and_saveexec_b64 s[10:11], s[48:49]
	s_cbranch_execz .LBB14_63
; %bb.62:
	v_bcnt_u32_b32 v8, v10, 0
	v_bcnt_u32_b32 v8, v11, v8
	s_waitcnt lgkmcnt(0)
	v_add_u32_e32 v8, v58, v8
	ds_write_b32 v59, v8 offset:16
.LBB14_63:
	s_or_b64 exec, exec, s[10:11]
	v_lshrrev_b32_e32 v8, s8, v19
	v_and_b32_e32 v63, s33, v8
	v_mul_lo_u32 v8, v63, 20
	v_lshl_add_u32 v62, v43, 2, v8
	v_and_b32_e32 v8, 1, v63
	v_lshl_add_u64 v[10:11], v[8:9], 0, -1
	v_cmp_ne_u32_e32 vcc, 0, v8
	; wave barrier
	s_nop 1
	v_xor_b32_e32 v10, vcc_lo, v10
	v_xor_b32_e32 v8, vcc_hi, v11
	v_and_b32_e32 v64, exec_lo, v10
	v_lshlrev_b32_e32 v11, 30, v63
	v_mov_b32_e32 v10, v9
	v_cmp_gt_i64_e32 vcc, 0, v[10:11]
	v_not_b32_e32 v10, v11
	v_ashrrev_i32_e32 v10, 31, v10
	v_and_b32_e32 v8, exec_hi, v8
	v_xor_b32_e32 v11, vcc_hi, v10
	v_xor_b32_e32 v10, vcc_lo, v10
	v_and_b32_e32 v8, v8, v11
	v_and_b32_e32 v64, v64, v10
	v_lshlrev_b32_e32 v11, 29, v63
	v_mov_b32_e32 v10, v9
	v_cmp_gt_i64_e32 vcc, 0, v[10:11]
	v_not_b32_e32 v10, v11
	v_ashrrev_i32_e32 v10, 31, v10
	v_xor_b32_e32 v11, vcc_hi, v10
	v_xor_b32_e32 v10, vcc_lo, v10
	v_and_b32_e32 v8, v8, v11
	v_and_b32_e32 v64, v64, v10
	v_lshlrev_b32_e32 v11, 28, v63
	v_mov_b32_e32 v10, v9
	v_cmp_gt_i64_e32 vcc, 0, v[10:11]
	v_not_b32_e32 v10, v11
	v_ashrrev_i32_e32 v10, 31, v10
	;; [unrolled: 9-line block ×5, first 2 shown]
	v_xor_b32_e32 v11, vcc_hi, v10
	v_xor_b32_e32 v10, vcc_lo, v10
	v_and_b32_e32 v8, v8, v11
	v_lshlrev_b32_e32 v11, 24, v63
	v_and_b32_e32 v64, v64, v10
	v_mov_b32_e32 v10, v9
	v_not_b32_e32 v9, v11
	v_cmp_gt_i64_e32 vcc, 0, v[10:11]
	v_ashrrev_i32_e32 v9, 31, v9
	ds_read_b32 v61, v62 offset:16
	v_xor_b32_e32 v10, vcc_hi, v9
	v_xor_b32_e32 v11, vcc_lo, v9
	v_and_b32_e32 v9, v8, v10
	v_and_b32_e32 v8, v64, v11
	v_mbcnt_lo_u32_b32 v10, v8, 0
	v_mbcnt_hi_u32_b32 v63, v9, v10
	v_cmp_eq_u32_e32 vcc, 0, v63
	v_cmp_ne_u64_e64 s[48:49], 0, v[8:9]
	s_and_b64 s[48:49], s[48:49], vcc
	; wave barrier
	s_and_saveexec_b64 s[10:11], s[48:49]
	s_cbranch_execz .LBB14_65
; %bb.64:
	v_bcnt_u32_b32 v8, v8, 0
	v_bcnt_u32_b32 v8, v9, v8
	s_waitcnt lgkmcnt(0)
	v_add_u32_e32 v8, v61, v8
	ds_write_b32 v62, v8 offset:16
.LBB14_65:
	s_or_b64 exec, exec, s[10:11]
	v_lshrrev_b32_e32 v8, s8, v22
	v_and_b32_e32 v66, s33, v8
	v_mul_lo_u32 v8, v66, 20
	v_lshl_add_u32 v65, v43, 2, v8
	v_and_b32_e32 v8, 1, v66
	v_mov_b32_e32 v9, 0
	v_lshl_add_u64 v[10:11], v[8:9], 0, -1
	v_cmp_ne_u32_e32 vcc, 0, v8
	; wave barrier
	s_nop 1
	v_xor_b32_e32 v10, vcc_lo, v10
	v_xor_b32_e32 v8, vcc_hi, v11
	v_and_b32_e32 v67, exec_lo, v10
	v_lshlrev_b32_e32 v11, 30, v66
	v_mov_b32_e32 v10, v9
	v_cmp_gt_i64_e32 vcc, 0, v[10:11]
	v_not_b32_e32 v10, v11
	v_ashrrev_i32_e32 v10, 31, v10
	v_and_b32_e32 v8, exec_hi, v8
	v_xor_b32_e32 v11, vcc_hi, v10
	v_xor_b32_e32 v10, vcc_lo, v10
	v_and_b32_e32 v8, v8, v11
	v_and_b32_e32 v67, v67, v10
	v_lshlrev_b32_e32 v11, 29, v66
	v_mov_b32_e32 v10, v9
	v_cmp_gt_i64_e32 vcc, 0, v[10:11]
	v_not_b32_e32 v10, v11
	v_ashrrev_i32_e32 v10, 31, v10
	v_xor_b32_e32 v11, vcc_hi, v10
	v_xor_b32_e32 v10, vcc_lo, v10
	v_and_b32_e32 v8, v8, v11
	v_and_b32_e32 v67, v67, v10
	v_lshlrev_b32_e32 v11, 28, v66
	v_mov_b32_e32 v10, v9
	v_cmp_gt_i64_e32 vcc, 0, v[10:11]
	v_not_b32_e32 v10, v11
	v_ashrrev_i32_e32 v10, 31, v10
	;; [unrolled: 9-line block ×6, first 2 shown]
	v_xor_b32_e32 v11, vcc_hi, v10
	v_xor_b32_e32 v10, vcc_lo, v10
	ds_read_b32 v64, v65 offset:16
	v_and_b32_e32 v10, v67, v10
	v_and_b32_e32 v11, v8, v11
	v_mbcnt_lo_u32_b32 v8, v10, 0
	v_mbcnt_hi_u32_b32 v66, v11, v8
	v_cmp_eq_u32_e32 vcc, 0, v66
	v_cmp_ne_u64_e64 s[48:49], 0, v[10:11]
	s_and_b64 s[48:49], s[48:49], vcc
	; wave barrier
	s_and_saveexec_b64 s[10:11], s[48:49]
	s_cbranch_execz .LBB14_67
; %bb.66:
	v_bcnt_u32_b32 v8, v10, 0
	v_bcnt_u32_b32 v8, v11, v8
	s_waitcnt lgkmcnt(0)
	v_add_u32_e32 v8, v64, v8
	ds_write_b32 v65, v8 offset:16
.LBB14_67:
	s_or_b64 exec, exec, s[10:11]
	v_lshrrev_b32_e32 v8, s8, v21
	v_and_b32_e32 v69, s33, v8
	v_mul_lo_u32 v8, v69, 20
	v_lshl_add_u32 v68, v43, 2, v8
	v_and_b32_e32 v8, 1, v69
	v_lshl_add_u64 v[10:11], v[8:9], 0, -1
	v_cmp_ne_u32_e32 vcc, 0, v8
	; wave barrier
	s_nop 1
	v_xor_b32_e32 v10, vcc_lo, v10
	v_xor_b32_e32 v8, vcc_hi, v11
	v_and_b32_e32 v70, exec_lo, v10
	v_lshlrev_b32_e32 v11, 30, v69
	v_mov_b32_e32 v10, v9
	v_cmp_gt_i64_e32 vcc, 0, v[10:11]
	v_not_b32_e32 v10, v11
	v_ashrrev_i32_e32 v10, 31, v10
	v_and_b32_e32 v8, exec_hi, v8
	v_xor_b32_e32 v11, vcc_hi, v10
	v_xor_b32_e32 v10, vcc_lo, v10
	v_and_b32_e32 v8, v8, v11
	v_and_b32_e32 v70, v70, v10
	v_lshlrev_b32_e32 v11, 29, v69
	v_mov_b32_e32 v10, v9
	v_cmp_gt_i64_e32 vcc, 0, v[10:11]
	v_not_b32_e32 v10, v11
	v_ashrrev_i32_e32 v10, 31, v10
	v_xor_b32_e32 v11, vcc_hi, v10
	v_xor_b32_e32 v10, vcc_lo, v10
	v_and_b32_e32 v8, v8, v11
	v_and_b32_e32 v70, v70, v10
	v_lshlrev_b32_e32 v11, 28, v69
	v_mov_b32_e32 v10, v9
	v_cmp_gt_i64_e32 vcc, 0, v[10:11]
	v_not_b32_e32 v10, v11
	v_ashrrev_i32_e32 v10, 31, v10
	;; [unrolled: 9-line block ×5, first 2 shown]
	v_xor_b32_e32 v11, vcc_hi, v10
	v_xor_b32_e32 v10, vcc_lo, v10
	v_and_b32_e32 v8, v8, v11
	v_lshlrev_b32_e32 v11, 24, v69
	v_and_b32_e32 v70, v70, v10
	v_mov_b32_e32 v10, v9
	v_not_b32_e32 v9, v11
	v_cmp_gt_i64_e32 vcc, 0, v[10:11]
	v_ashrrev_i32_e32 v9, 31, v9
	ds_read_b32 v67, v68 offset:16
	v_xor_b32_e32 v10, vcc_hi, v9
	v_xor_b32_e32 v11, vcc_lo, v9
	v_and_b32_e32 v9, v8, v10
	v_and_b32_e32 v8, v70, v11
	v_mbcnt_lo_u32_b32 v10, v8, 0
	v_mbcnt_hi_u32_b32 v69, v9, v10
	v_cmp_eq_u32_e32 vcc, 0, v69
	v_cmp_ne_u64_e64 s[48:49], 0, v[8:9]
	s_and_b64 s[48:49], s[48:49], vcc
	; wave barrier
	s_and_saveexec_b64 s[10:11], s[48:49]
	s_cbranch_execz .LBB14_69
; %bb.68:
	v_bcnt_u32_b32 v8, v8, 0
	v_bcnt_u32_b32 v8, v9, v8
	s_waitcnt lgkmcnt(0)
	v_add_u32_e32 v8, v67, v8
	ds_write_b32 v68, v8 offset:16
.LBB14_69:
	s_or_b64 exec, exec, s[10:11]
	v_lshrrev_b32_e32 v8, s8, v24
	v_and_b32_e32 v72, s33, v8
	v_mul_lo_u32 v8, v72, 20
	v_lshl_add_u32 v71, v43, 2, v8
	v_and_b32_e32 v8, 1, v72
	v_mov_b32_e32 v9, 0
	v_lshl_add_u64 v[10:11], v[8:9], 0, -1
	v_cmp_ne_u32_e32 vcc, 0, v8
	; wave barrier
	s_nop 1
	v_xor_b32_e32 v10, vcc_lo, v10
	v_xor_b32_e32 v8, vcc_hi, v11
	v_and_b32_e32 v73, exec_lo, v10
	v_lshlrev_b32_e32 v11, 30, v72
	v_mov_b32_e32 v10, v9
	v_cmp_gt_i64_e32 vcc, 0, v[10:11]
	v_not_b32_e32 v10, v11
	v_ashrrev_i32_e32 v10, 31, v10
	v_and_b32_e32 v8, exec_hi, v8
	v_xor_b32_e32 v11, vcc_hi, v10
	v_xor_b32_e32 v10, vcc_lo, v10
	v_and_b32_e32 v8, v8, v11
	v_and_b32_e32 v73, v73, v10
	v_lshlrev_b32_e32 v11, 29, v72
	v_mov_b32_e32 v10, v9
	v_cmp_gt_i64_e32 vcc, 0, v[10:11]
	v_not_b32_e32 v10, v11
	v_ashrrev_i32_e32 v10, 31, v10
	v_xor_b32_e32 v11, vcc_hi, v10
	v_xor_b32_e32 v10, vcc_lo, v10
	v_and_b32_e32 v8, v8, v11
	v_and_b32_e32 v73, v73, v10
	v_lshlrev_b32_e32 v11, 28, v72
	v_mov_b32_e32 v10, v9
	v_cmp_gt_i64_e32 vcc, 0, v[10:11]
	v_not_b32_e32 v10, v11
	v_ashrrev_i32_e32 v10, 31, v10
	v_xor_b32_e32 v11, vcc_hi, v10
	v_xor_b32_e32 v10, vcc_lo, v10
	v_and_b32_e32 v8, v8, v11
	v_and_b32_e32 v73, v73, v10
	v_lshlrev_b32_e32 v11, 27, v72
	v_mov_b32_e32 v10, v9
	v_cmp_gt_i64_e32 vcc, 0, v[10:11]
	v_not_b32_e32 v10, v11
	v_ashrrev_i32_e32 v10, 31, v10
	v_xor_b32_e32 v11, vcc_hi, v10
	v_xor_b32_e32 v10, vcc_lo, v10
	v_and_b32_e32 v8, v8, v11
	v_and_b32_e32 v73, v73, v10
	v_lshlrev_b32_e32 v11, 26, v72
	v_mov_b32_e32 v10, v9
	v_cmp_gt_i64_e32 vcc, 0, v[10:11]
	v_not_b32_e32 v10, v11
	v_ashrrev_i32_e32 v10, 31, v10
	v_xor_b32_e32 v11, vcc_hi, v10
	v_xor_b32_e32 v10, vcc_lo, v10
	v_and_b32_e32 v8, v8, v11
	v_and_b32_e32 v73, v73, v10
	v_lshlrev_b32_e32 v11, 25, v72
	v_mov_b32_e32 v10, v9
	v_cmp_gt_i64_e32 vcc, 0, v[10:11]
	v_not_b32_e32 v10, v11
	v_ashrrev_i32_e32 v10, 31, v10
	v_xor_b32_e32 v11, vcc_hi, v10
	v_xor_b32_e32 v10, vcc_lo, v10
	v_and_b32_e32 v8, v8, v11
	v_and_b32_e32 v73, v73, v10
	v_lshlrev_b32_e32 v11, 24, v72
	v_mov_b32_e32 v10, v9
	v_cmp_gt_i64_e32 vcc, 0, v[10:11]
	v_not_b32_e32 v10, v11
	v_ashrrev_i32_e32 v10, 31, v10
	v_xor_b32_e32 v11, vcc_hi, v10
	v_xor_b32_e32 v10, vcc_lo, v10
	ds_read_b32 v70, v71 offset:16
	v_and_b32_e32 v10, v73, v10
	v_and_b32_e32 v11, v8, v11
	v_mbcnt_lo_u32_b32 v8, v10, 0
	v_mbcnt_hi_u32_b32 v72, v11, v8
	v_cmp_eq_u32_e32 vcc, 0, v72
	v_cmp_ne_u64_e64 s[48:49], 0, v[10:11]
	s_and_b64 s[48:49], s[48:49], vcc
	; wave barrier
	s_and_saveexec_b64 s[10:11], s[48:49]
	s_cbranch_execz .LBB14_71
; %bb.70:
	v_bcnt_u32_b32 v8, v10, 0
	v_bcnt_u32_b32 v8, v11, v8
	s_waitcnt lgkmcnt(0)
	v_add_u32_e32 v8, v70, v8
	ds_write_b32 v71, v8 offset:16
.LBB14_71:
	s_or_b64 exec, exec, s[10:11]
	v_lshrrev_b32_e32 v8, s8, v23
	v_and_b32_e32 v75, s33, v8
	v_mul_lo_u32 v8, v75, 20
	v_lshl_add_u32 v74, v43, 2, v8
	v_and_b32_e32 v8, 1, v75
	v_lshl_add_u64 v[10:11], v[8:9], 0, -1
	v_cmp_ne_u32_e32 vcc, 0, v8
	; wave barrier
	s_nop 1
	v_xor_b32_e32 v10, vcc_lo, v10
	v_xor_b32_e32 v8, vcc_hi, v11
	v_and_b32_e32 v76, exec_lo, v10
	v_lshlrev_b32_e32 v11, 30, v75
	v_mov_b32_e32 v10, v9
	v_cmp_gt_i64_e32 vcc, 0, v[10:11]
	v_not_b32_e32 v10, v11
	v_ashrrev_i32_e32 v10, 31, v10
	v_and_b32_e32 v8, exec_hi, v8
	v_xor_b32_e32 v11, vcc_hi, v10
	v_xor_b32_e32 v10, vcc_lo, v10
	v_and_b32_e32 v8, v8, v11
	v_and_b32_e32 v76, v76, v10
	v_lshlrev_b32_e32 v11, 29, v75
	v_mov_b32_e32 v10, v9
	v_cmp_gt_i64_e32 vcc, 0, v[10:11]
	v_not_b32_e32 v10, v11
	v_ashrrev_i32_e32 v10, 31, v10
	v_xor_b32_e32 v11, vcc_hi, v10
	v_xor_b32_e32 v10, vcc_lo, v10
	v_and_b32_e32 v8, v8, v11
	v_and_b32_e32 v76, v76, v10
	v_lshlrev_b32_e32 v11, 28, v75
	v_mov_b32_e32 v10, v9
	v_cmp_gt_i64_e32 vcc, 0, v[10:11]
	v_not_b32_e32 v10, v11
	v_ashrrev_i32_e32 v10, 31, v10
	v_xor_b32_e32 v11, vcc_hi, v10
	v_xor_b32_e32 v10, vcc_lo, v10
	v_and_b32_e32 v8, v8, v11
	v_and_b32_e32 v76, v76, v10
	v_lshlrev_b32_e32 v11, 27, v75
	v_mov_b32_e32 v10, v9
	v_cmp_gt_i64_e32 vcc, 0, v[10:11]
	v_not_b32_e32 v10, v11
	v_ashrrev_i32_e32 v10, 31, v10
	v_xor_b32_e32 v11, vcc_hi, v10
	v_xor_b32_e32 v10, vcc_lo, v10
	v_and_b32_e32 v8, v8, v11
	v_and_b32_e32 v76, v76, v10
	v_lshlrev_b32_e32 v11, 26, v75
	v_mov_b32_e32 v10, v9
	v_cmp_gt_i64_e32 vcc, 0, v[10:11]
	v_not_b32_e32 v10, v11
	v_ashrrev_i32_e32 v10, 31, v10
	v_xor_b32_e32 v11, vcc_hi, v10
	v_xor_b32_e32 v10, vcc_lo, v10
	v_and_b32_e32 v8, v8, v11
	v_and_b32_e32 v76, v76, v10
	v_lshlrev_b32_e32 v11, 25, v75
	v_mov_b32_e32 v10, v9
	v_cmp_gt_i64_e32 vcc, 0, v[10:11]
	v_not_b32_e32 v10, v11
	v_ashrrev_i32_e32 v10, 31, v10
	v_xor_b32_e32 v11, vcc_hi, v10
	v_xor_b32_e32 v10, vcc_lo, v10
	v_and_b32_e32 v8, v8, v11
	v_lshlrev_b32_e32 v11, 24, v75
	v_and_b32_e32 v76, v76, v10
	v_mov_b32_e32 v10, v9
	v_not_b32_e32 v9, v11
	v_cmp_gt_i64_e32 vcc, 0, v[10:11]
	v_ashrrev_i32_e32 v9, 31, v9
	ds_read_b32 v73, v74 offset:16
	v_xor_b32_e32 v10, vcc_hi, v9
	v_xor_b32_e32 v11, vcc_lo, v9
	v_and_b32_e32 v9, v8, v10
	v_and_b32_e32 v8, v76, v11
	v_mbcnt_lo_u32_b32 v10, v8, 0
	v_mbcnt_hi_u32_b32 v75, v9, v10
	v_cmp_eq_u32_e32 vcc, 0, v75
	v_cmp_ne_u64_e64 s[48:49], 0, v[8:9]
	s_and_b64 s[48:49], s[48:49], vcc
	; wave barrier
	s_and_saveexec_b64 s[10:11], s[48:49]
	s_cbranch_execz .LBB14_73
; %bb.72:
	v_bcnt_u32_b32 v8, v8, 0
	v_bcnt_u32_b32 v8, v9, v8
	s_waitcnt lgkmcnt(0)
	v_add_u32_e32 v8, v73, v8
	ds_write_b32 v74, v8 offset:16
.LBB14_73:
	s_or_b64 exec, exec, s[10:11]
	v_lshrrev_b32_e32 v8, s8, v26
	v_and_b32_e32 v78, s33, v8
	v_mul_lo_u32 v8, v78, 20
	v_lshl_add_u32 v77, v43, 2, v8
	v_and_b32_e32 v8, 1, v78
	v_mov_b32_e32 v9, 0
	v_lshl_add_u64 v[10:11], v[8:9], 0, -1
	v_cmp_ne_u32_e32 vcc, 0, v8
	; wave barrier
	s_nop 1
	v_xor_b32_e32 v10, vcc_lo, v10
	v_xor_b32_e32 v8, vcc_hi, v11
	v_and_b32_e32 v79, exec_lo, v10
	v_lshlrev_b32_e32 v11, 30, v78
	v_mov_b32_e32 v10, v9
	v_cmp_gt_i64_e32 vcc, 0, v[10:11]
	v_not_b32_e32 v10, v11
	v_ashrrev_i32_e32 v10, 31, v10
	v_and_b32_e32 v8, exec_hi, v8
	v_xor_b32_e32 v11, vcc_hi, v10
	v_xor_b32_e32 v10, vcc_lo, v10
	v_and_b32_e32 v8, v8, v11
	v_and_b32_e32 v79, v79, v10
	v_lshlrev_b32_e32 v11, 29, v78
	v_mov_b32_e32 v10, v9
	v_cmp_gt_i64_e32 vcc, 0, v[10:11]
	v_not_b32_e32 v10, v11
	v_ashrrev_i32_e32 v10, 31, v10
	v_xor_b32_e32 v11, vcc_hi, v10
	v_xor_b32_e32 v10, vcc_lo, v10
	v_and_b32_e32 v8, v8, v11
	v_and_b32_e32 v79, v79, v10
	v_lshlrev_b32_e32 v11, 28, v78
	v_mov_b32_e32 v10, v9
	v_cmp_gt_i64_e32 vcc, 0, v[10:11]
	v_not_b32_e32 v10, v11
	v_ashrrev_i32_e32 v10, 31, v10
	v_xor_b32_e32 v11, vcc_hi, v10
	v_xor_b32_e32 v10, vcc_lo, v10
	v_and_b32_e32 v8, v8, v11
	v_and_b32_e32 v79, v79, v10
	v_lshlrev_b32_e32 v11, 27, v78
	v_mov_b32_e32 v10, v9
	v_cmp_gt_i64_e32 vcc, 0, v[10:11]
	v_not_b32_e32 v10, v11
	v_ashrrev_i32_e32 v10, 31, v10
	v_xor_b32_e32 v11, vcc_hi, v10
	v_xor_b32_e32 v10, vcc_lo, v10
	v_and_b32_e32 v8, v8, v11
	v_and_b32_e32 v79, v79, v10
	v_lshlrev_b32_e32 v11, 26, v78
	v_mov_b32_e32 v10, v9
	v_cmp_gt_i64_e32 vcc, 0, v[10:11]
	v_not_b32_e32 v10, v11
	v_ashrrev_i32_e32 v10, 31, v10
	v_xor_b32_e32 v11, vcc_hi, v10
	v_xor_b32_e32 v10, vcc_lo, v10
	v_and_b32_e32 v8, v8, v11
	v_and_b32_e32 v79, v79, v10
	v_lshlrev_b32_e32 v11, 25, v78
	v_mov_b32_e32 v10, v9
	v_cmp_gt_i64_e32 vcc, 0, v[10:11]
	v_not_b32_e32 v10, v11
	v_ashrrev_i32_e32 v10, 31, v10
	v_xor_b32_e32 v11, vcc_hi, v10
	v_xor_b32_e32 v10, vcc_lo, v10
	v_and_b32_e32 v8, v8, v11
	v_and_b32_e32 v79, v79, v10
	v_lshlrev_b32_e32 v11, 24, v78
	v_mov_b32_e32 v10, v9
	v_cmp_gt_i64_e32 vcc, 0, v[10:11]
	v_not_b32_e32 v10, v11
	v_ashrrev_i32_e32 v10, 31, v10
	v_xor_b32_e32 v11, vcc_hi, v10
	v_xor_b32_e32 v10, vcc_lo, v10
	ds_read_b32 v76, v77 offset:16
	v_and_b32_e32 v10, v79, v10
	v_and_b32_e32 v11, v8, v11
	v_mbcnt_lo_u32_b32 v8, v10, 0
	v_mbcnt_hi_u32_b32 v78, v11, v8
	v_cmp_eq_u32_e32 vcc, 0, v78
	v_cmp_ne_u64_e64 s[48:49], 0, v[10:11]
	s_and_b64 s[48:49], s[48:49], vcc
	; wave barrier
	s_and_saveexec_b64 s[10:11], s[48:49]
	s_cbranch_execz .LBB14_75
; %bb.74:
	v_bcnt_u32_b32 v8, v10, 0
	v_bcnt_u32_b32 v8, v11, v8
	s_waitcnt lgkmcnt(0)
	v_add_u32_e32 v8, v76, v8
	ds_write_b32 v77, v8 offset:16
.LBB14_75:
	s_or_b64 exec, exec, s[10:11]
	v_lshrrev_b32_e32 v8, s8, v25
	v_and_b32_e32 v81, s33, v8
	v_mul_lo_u32 v8, v81, 20
	v_lshl_add_u32 v80, v43, 2, v8
	v_and_b32_e32 v8, 1, v81
	v_lshl_add_u64 v[10:11], v[8:9], 0, -1
	v_cmp_ne_u32_e32 vcc, 0, v8
	; wave barrier
	s_nop 1
	v_xor_b32_e32 v10, vcc_lo, v10
	v_xor_b32_e32 v8, vcc_hi, v11
	v_and_b32_e32 v82, exec_lo, v10
	v_lshlrev_b32_e32 v11, 30, v81
	v_mov_b32_e32 v10, v9
	v_cmp_gt_i64_e32 vcc, 0, v[10:11]
	v_not_b32_e32 v10, v11
	v_ashrrev_i32_e32 v10, 31, v10
	v_and_b32_e32 v8, exec_hi, v8
	v_xor_b32_e32 v11, vcc_hi, v10
	v_xor_b32_e32 v10, vcc_lo, v10
	v_and_b32_e32 v8, v8, v11
	v_and_b32_e32 v82, v82, v10
	v_lshlrev_b32_e32 v11, 29, v81
	v_mov_b32_e32 v10, v9
	v_cmp_gt_i64_e32 vcc, 0, v[10:11]
	v_not_b32_e32 v10, v11
	v_ashrrev_i32_e32 v10, 31, v10
	v_xor_b32_e32 v11, vcc_hi, v10
	v_xor_b32_e32 v10, vcc_lo, v10
	v_and_b32_e32 v8, v8, v11
	v_and_b32_e32 v82, v82, v10
	v_lshlrev_b32_e32 v11, 28, v81
	v_mov_b32_e32 v10, v9
	v_cmp_gt_i64_e32 vcc, 0, v[10:11]
	v_not_b32_e32 v10, v11
	v_ashrrev_i32_e32 v10, 31, v10
	;; [unrolled: 9-line block ×5, first 2 shown]
	v_xor_b32_e32 v11, vcc_hi, v10
	v_xor_b32_e32 v10, vcc_lo, v10
	v_and_b32_e32 v8, v8, v11
	v_lshlrev_b32_e32 v11, 24, v81
	v_and_b32_e32 v82, v82, v10
	v_mov_b32_e32 v10, v9
	v_not_b32_e32 v9, v11
	v_cmp_gt_i64_e32 vcc, 0, v[10:11]
	v_ashrrev_i32_e32 v9, 31, v9
	ds_read_b32 v79, v80 offset:16
	v_xor_b32_e32 v10, vcc_hi, v9
	v_xor_b32_e32 v11, vcc_lo, v9
	v_and_b32_e32 v9, v8, v10
	v_and_b32_e32 v8, v82, v11
	v_mbcnt_lo_u32_b32 v10, v8, 0
	v_mbcnt_hi_u32_b32 v81, v9, v10
	v_cmp_eq_u32_e32 vcc, 0, v81
	v_cmp_ne_u64_e64 s[48:49], 0, v[8:9]
	s_and_b64 s[48:49], s[48:49], vcc
	; wave barrier
	s_and_saveexec_b64 s[10:11], s[48:49]
	s_cbranch_execz .LBB14_77
; %bb.76:
	v_bcnt_u32_b32 v8, v8, 0
	v_bcnt_u32_b32 v8, v9, v8
	s_waitcnt lgkmcnt(0)
	v_add_u32_e32 v8, v79, v8
	ds_write_b32 v80, v8 offset:16
.LBB14_77:
	s_or_b64 exec, exec, s[10:11]
	v_lshrrev_b32_e32 v8, s8, v28
	v_and_b32_e32 v84, s33, v8
	v_mul_lo_u32 v8, v84, 20
	v_lshl_add_u32 v83, v43, 2, v8
	v_and_b32_e32 v8, 1, v84
	v_mov_b32_e32 v9, 0
	v_lshl_add_u64 v[10:11], v[8:9], 0, -1
	v_cmp_ne_u32_e32 vcc, 0, v8
	; wave barrier
	s_nop 1
	v_xor_b32_e32 v10, vcc_lo, v10
	v_xor_b32_e32 v8, vcc_hi, v11
	v_and_b32_e32 v85, exec_lo, v10
	v_lshlrev_b32_e32 v11, 30, v84
	v_mov_b32_e32 v10, v9
	v_cmp_gt_i64_e32 vcc, 0, v[10:11]
	v_not_b32_e32 v10, v11
	v_ashrrev_i32_e32 v10, 31, v10
	v_and_b32_e32 v8, exec_hi, v8
	v_xor_b32_e32 v11, vcc_hi, v10
	v_xor_b32_e32 v10, vcc_lo, v10
	v_and_b32_e32 v8, v8, v11
	v_and_b32_e32 v85, v85, v10
	v_lshlrev_b32_e32 v11, 29, v84
	v_mov_b32_e32 v10, v9
	v_cmp_gt_i64_e32 vcc, 0, v[10:11]
	v_not_b32_e32 v10, v11
	v_ashrrev_i32_e32 v10, 31, v10
	v_xor_b32_e32 v11, vcc_hi, v10
	v_xor_b32_e32 v10, vcc_lo, v10
	v_and_b32_e32 v8, v8, v11
	v_and_b32_e32 v85, v85, v10
	v_lshlrev_b32_e32 v11, 28, v84
	v_mov_b32_e32 v10, v9
	v_cmp_gt_i64_e32 vcc, 0, v[10:11]
	v_not_b32_e32 v10, v11
	v_ashrrev_i32_e32 v10, 31, v10
	;; [unrolled: 9-line block ×6, first 2 shown]
	v_xor_b32_e32 v11, vcc_hi, v10
	v_xor_b32_e32 v10, vcc_lo, v10
	ds_read_b32 v82, v83 offset:16
	v_and_b32_e32 v10, v85, v10
	v_and_b32_e32 v11, v8, v11
	v_mbcnt_lo_u32_b32 v8, v10, 0
	v_mbcnt_hi_u32_b32 v84, v11, v8
	v_cmp_eq_u32_e32 vcc, 0, v84
	v_cmp_ne_u64_e64 s[48:49], 0, v[10:11]
	s_and_b64 s[48:49], s[48:49], vcc
	; wave barrier
	s_and_saveexec_b64 s[10:11], s[48:49]
	s_cbranch_execz .LBB14_79
; %bb.78:
	v_bcnt_u32_b32 v8, v10, 0
	v_bcnt_u32_b32 v8, v11, v8
	s_waitcnt lgkmcnt(0)
	v_add_u32_e32 v8, v82, v8
	ds_write_b32 v83, v8 offset:16
.LBB14_79:
	s_or_b64 exec, exec, s[10:11]
	v_lshrrev_b32_e32 v8, s8, v27
	v_and_b32_e32 v87, s33, v8
	v_mul_lo_u32 v8, v87, 20
	v_lshl_add_u32 v86, v43, 2, v8
	v_and_b32_e32 v8, 1, v87
	v_lshl_add_u64 v[10:11], v[8:9], 0, -1
	v_cmp_ne_u32_e32 vcc, 0, v8
	; wave barrier
	s_nop 1
	v_xor_b32_e32 v10, vcc_lo, v10
	v_xor_b32_e32 v8, vcc_hi, v11
	v_and_b32_e32 v88, exec_lo, v10
	v_lshlrev_b32_e32 v11, 30, v87
	v_mov_b32_e32 v10, v9
	v_cmp_gt_i64_e32 vcc, 0, v[10:11]
	v_not_b32_e32 v10, v11
	v_ashrrev_i32_e32 v10, 31, v10
	v_and_b32_e32 v8, exec_hi, v8
	v_xor_b32_e32 v11, vcc_hi, v10
	v_xor_b32_e32 v10, vcc_lo, v10
	v_and_b32_e32 v8, v8, v11
	v_and_b32_e32 v88, v88, v10
	v_lshlrev_b32_e32 v11, 29, v87
	v_mov_b32_e32 v10, v9
	v_cmp_gt_i64_e32 vcc, 0, v[10:11]
	v_not_b32_e32 v10, v11
	v_ashrrev_i32_e32 v10, 31, v10
	v_xor_b32_e32 v11, vcc_hi, v10
	v_xor_b32_e32 v10, vcc_lo, v10
	v_and_b32_e32 v8, v8, v11
	v_and_b32_e32 v88, v88, v10
	v_lshlrev_b32_e32 v11, 28, v87
	v_mov_b32_e32 v10, v9
	v_cmp_gt_i64_e32 vcc, 0, v[10:11]
	v_not_b32_e32 v10, v11
	v_ashrrev_i32_e32 v10, 31, v10
	;; [unrolled: 9-line block ×5, first 2 shown]
	v_xor_b32_e32 v11, vcc_hi, v10
	v_xor_b32_e32 v10, vcc_lo, v10
	v_and_b32_e32 v8, v8, v11
	v_lshlrev_b32_e32 v11, 24, v87
	v_and_b32_e32 v88, v88, v10
	v_mov_b32_e32 v10, v9
	v_not_b32_e32 v9, v11
	v_cmp_gt_i64_e32 vcc, 0, v[10:11]
	v_ashrrev_i32_e32 v9, 31, v9
	ds_read_b32 v85, v86 offset:16
	v_xor_b32_e32 v10, vcc_hi, v9
	v_xor_b32_e32 v11, vcc_lo, v9
	v_and_b32_e32 v9, v8, v10
	v_and_b32_e32 v8, v88, v11
	v_mbcnt_lo_u32_b32 v10, v8, 0
	v_mbcnt_hi_u32_b32 v87, v9, v10
	v_cmp_eq_u32_e32 vcc, 0, v87
	v_cmp_ne_u64_e64 s[48:49], 0, v[8:9]
	s_and_b64 s[48:49], s[48:49], vcc
	; wave barrier
	s_and_saveexec_b64 s[10:11], s[48:49]
	s_cbranch_execz .LBB14_81
; %bb.80:
	v_bcnt_u32_b32 v8, v8, 0
	v_bcnt_u32_b32 v8, v9, v8
	s_waitcnt lgkmcnt(0)
	v_add_u32_e32 v8, v85, v8
	ds_write_b32 v86, v8 offset:16
.LBB14_81:
	s_or_b64 exec, exec, s[10:11]
	v_lshrrev_b32_e32 v8, s8, v30
	v_and_b32_e32 v90, s33, v8
	v_mul_lo_u32 v8, v90, 20
	v_lshl_add_u32 v89, v43, 2, v8
	v_and_b32_e32 v8, 1, v90
	v_mov_b32_e32 v9, 0
	v_lshl_add_u64 v[10:11], v[8:9], 0, -1
	v_cmp_ne_u32_e32 vcc, 0, v8
	; wave barrier
	s_nop 1
	v_xor_b32_e32 v10, vcc_lo, v10
	v_xor_b32_e32 v8, vcc_hi, v11
	v_and_b32_e32 v91, exec_lo, v10
	v_lshlrev_b32_e32 v11, 30, v90
	v_mov_b32_e32 v10, v9
	v_cmp_gt_i64_e32 vcc, 0, v[10:11]
	v_not_b32_e32 v10, v11
	v_ashrrev_i32_e32 v10, 31, v10
	v_and_b32_e32 v8, exec_hi, v8
	v_xor_b32_e32 v11, vcc_hi, v10
	v_xor_b32_e32 v10, vcc_lo, v10
	v_and_b32_e32 v8, v8, v11
	v_and_b32_e32 v91, v91, v10
	v_lshlrev_b32_e32 v11, 29, v90
	v_mov_b32_e32 v10, v9
	v_cmp_gt_i64_e32 vcc, 0, v[10:11]
	v_not_b32_e32 v10, v11
	v_ashrrev_i32_e32 v10, 31, v10
	v_xor_b32_e32 v11, vcc_hi, v10
	v_xor_b32_e32 v10, vcc_lo, v10
	v_and_b32_e32 v8, v8, v11
	v_and_b32_e32 v91, v91, v10
	v_lshlrev_b32_e32 v11, 28, v90
	v_mov_b32_e32 v10, v9
	v_cmp_gt_i64_e32 vcc, 0, v[10:11]
	v_not_b32_e32 v10, v11
	v_ashrrev_i32_e32 v10, 31, v10
	;; [unrolled: 9-line block ×6, first 2 shown]
	v_xor_b32_e32 v11, vcc_hi, v10
	v_xor_b32_e32 v10, vcc_lo, v10
	ds_read_b32 v88, v89 offset:16
	v_and_b32_e32 v10, v91, v10
	v_and_b32_e32 v11, v8, v11
	v_mbcnt_lo_u32_b32 v8, v10, 0
	v_mbcnt_hi_u32_b32 v90, v11, v8
	v_cmp_eq_u32_e32 vcc, 0, v90
	v_cmp_ne_u64_e64 s[48:49], 0, v[10:11]
	s_and_b64 s[48:49], s[48:49], vcc
	; wave barrier
	s_and_saveexec_b64 s[10:11], s[48:49]
	s_cbranch_execz .LBB14_83
; %bb.82:
	v_bcnt_u32_b32 v8, v10, 0
	v_bcnt_u32_b32 v8, v11, v8
	s_waitcnt lgkmcnt(0)
	v_add_u32_e32 v8, v88, v8
	ds_write_b32 v89, v8 offset:16
.LBB14_83:
	s_or_b64 exec, exec, s[10:11]
	v_lshrrev_b32_e32 v8, s8, v29
	v_and_b32_e32 v93, s33, v8
	v_mul_lo_u32 v8, v93, 20
	v_lshl_add_u32 v92, v43, 2, v8
	v_and_b32_e32 v8, 1, v93
	v_lshl_add_u64 v[10:11], v[8:9], 0, -1
	v_cmp_ne_u32_e32 vcc, 0, v8
	; wave barrier
	s_nop 1
	v_xor_b32_e32 v10, vcc_lo, v10
	v_xor_b32_e32 v8, vcc_hi, v11
	v_and_b32_e32 v94, exec_lo, v10
	v_lshlrev_b32_e32 v11, 30, v93
	v_mov_b32_e32 v10, v9
	v_cmp_gt_i64_e32 vcc, 0, v[10:11]
	v_not_b32_e32 v10, v11
	v_ashrrev_i32_e32 v10, 31, v10
	v_and_b32_e32 v8, exec_hi, v8
	v_xor_b32_e32 v11, vcc_hi, v10
	v_xor_b32_e32 v10, vcc_lo, v10
	v_and_b32_e32 v8, v8, v11
	v_and_b32_e32 v94, v94, v10
	v_lshlrev_b32_e32 v11, 29, v93
	v_mov_b32_e32 v10, v9
	v_cmp_gt_i64_e32 vcc, 0, v[10:11]
	v_not_b32_e32 v10, v11
	v_ashrrev_i32_e32 v10, 31, v10
	v_xor_b32_e32 v11, vcc_hi, v10
	v_xor_b32_e32 v10, vcc_lo, v10
	v_and_b32_e32 v8, v8, v11
	v_and_b32_e32 v94, v94, v10
	v_lshlrev_b32_e32 v11, 28, v93
	v_mov_b32_e32 v10, v9
	v_cmp_gt_i64_e32 vcc, 0, v[10:11]
	v_not_b32_e32 v10, v11
	v_ashrrev_i32_e32 v10, 31, v10
	;; [unrolled: 9-line block ×5, first 2 shown]
	v_xor_b32_e32 v11, vcc_hi, v10
	v_xor_b32_e32 v10, vcc_lo, v10
	v_and_b32_e32 v8, v8, v11
	v_lshlrev_b32_e32 v11, 24, v93
	v_and_b32_e32 v94, v94, v10
	v_mov_b32_e32 v10, v9
	v_not_b32_e32 v9, v11
	v_cmp_gt_i64_e32 vcc, 0, v[10:11]
	v_ashrrev_i32_e32 v9, 31, v9
	ds_read_b32 v91, v92 offset:16
	v_xor_b32_e32 v10, vcc_hi, v9
	v_xor_b32_e32 v11, vcc_lo, v9
	v_and_b32_e32 v9, v8, v10
	v_and_b32_e32 v8, v94, v11
	v_mbcnt_lo_u32_b32 v10, v8, 0
	v_mbcnt_hi_u32_b32 v93, v9, v10
	v_cmp_eq_u32_e32 vcc, 0, v93
	v_cmp_ne_u64_e64 s[48:49], 0, v[8:9]
	s_and_b64 s[48:49], s[48:49], vcc
	; wave barrier
	s_and_saveexec_b64 s[10:11], s[48:49]
	s_cbranch_execz .LBB14_85
; %bb.84:
	v_bcnt_u32_b32 v8, v8, 0
	v_bcnt_u32_b32 v8, v9, v8
	s_waitcnt lgkmcnt(0)
	v_add_u32_e32 v8, v91, v8
	ds_write_b32 v92, v8 offset:16
.LBB14_85:
	s_or_b64 exec, exec, s[10:11]
	v_lshrrev_b32_e32 v8, s8, v32
	v_and_b32_e32 v96, s33, v8
	v_mul_lo_u32 v8, v96, 20
	v_lshl_add_u32 v95, v43, 2, v8
	v_and_b32_e32 v8, 1, v96
	v_mov_b32_e32 v9, 0
	v_lshl_add_u64 v[10:11], v[8:9], 0, -1
	v_cmp_ne_u32_e32 vcc, 0, v8
	; wave barrier
	s_nop 1
	v_xor_b32_e32 v10, vcc_lo, v10
	v_xor_b32_e32 v8, vcc_hi, v11
	v_and_b32_e32 v97, exec_lo, v10
	v_lshlrev_b32_e32 v11, 30, v96
	v_mov_b32_e32 v10, v9
	v_cmp_gt_i64_e32 vcc, 0, v[10:11]
	v_not_b32_e32 v10, v11
	v_ashrrev_i32_e32 v10, 31, v10
	v_and_b32_e32 v8, exec_hi, v8
	v_xor_b32_e32 v11, vcc_hi, v10
	v_xor_b32_e32 v10, vcc_lo, v10
	v_and_b32_e32 v8, v8, v11
	v_and_b32_e32 v97, v97, v10
	v_lshlrev_b32_e32 v11, 29, v96
	v_mov_b32_e32 v10, v9
	v_cmp_gt_i64_e32 vcc, 0, v[10:11]
	v_not_b32_e32 v10, v11
	v_ashrrev_i32_e32 v10, 31, v10
	v_xor_b32_e32 v11, vcc_hi, v10
	v_xor_b32_e32 v10, vcc_lo, v10
	v_and_b32_e32 v8, v8, v11
	v_and_b32_e32 v97, v97, v10
	v_lshlrev_b32_e32 v11, 28, v96
	v_mov_b32_e32 v10, v9
	v_cmp_gt_i64_e32 vcc, 0, v[10:11]
	v_not_b32_e32 v10, v11
	v_ashrrev_i32_e32 v10, 31, v10
	;; [unrolled: 9-line block ×6, first 2 shown]
	v_xor_b32_e32 v11, vcc_hi, v10
	v_xor_b32_e32 v10, vcc_lo, v10
	ds_read_b32 v94, v95 offset:16
	v_and_b32_e32 v10, v97, v10
	v_and_b32_e32 v11, v8, v11
	v_mbcnt_lo_u32_b32 v8, v10, 0
	v_mbcnt_hi_u32_b32 v96, v11, v8
	v_cmp_eq_u32_e32 vcc, 0, v96
	v_cmp_ne_u64_e64 s[48:49], 0, v[10:11]
	s_and_b64 s[48:49], s[48:49], vcc
	; wave barrier
	s_and_saveexec_b64 s[10:11], s[48:49]
	s_cbranch_execz .LBB14_87
; %bb.86:
	v_bcnt_u32_b32 v8, v10, 0
	v_bcnt_u32_b32 v8, v11, v8
	s_waitcnt lgkmcnt(0)
	v_add_u32_e32 v8, v94, v8
	ds_write_b32 v95, v8 offset:16
.LBB14_87:
	s_or_b64 exec, exec, s[10:11]
	v_lshrrev_b32_e32 v8, s8, v31
	v_and_b32_e32 v98, s33, v8
	v_mul_lo_u32 v8, v98, 20
	v_lshl_add_u32 v43, v43, 2, v8
	v_and_b32_e32 v8, 1, v98
	v_lshl_add_u64 v[10:11], v[8:9], 0, -1
	v_cmp_ne_u32_e32 vcc, 0, v8
	; wave barrier
	s_nop 1
	v_xor_b32_e32 v10, vcc_lo, v10
	v_xor_b32_e32 v8, vcc_hi, v11
	v_and_b32_e32 v99, exec_lo, v10
	v_lshlrev_b32_e32 v11, 30, v98
	v_mov_b32_e32 v10, v9
	v_cmp_gt_i64_e32 vcc, 0, v[10:11]
	v_not_b32_e32 v10, v11
	v_ashrrev_i32_e32 v10, 31, v10
	v_and_b32_e32 v8, exec_hi, v8
	v_xor_b32_e32 v11, vcc_hi, v10
	v_xor_b32_e32 v10, vcc_lo, v10
	v_and_b32_e32 v8, v8, v11
	v_and_b32_e32 v99, v99, v10
	v_lshlrev_b32_e32 v11, 29, v98
	v_mov_b32_e32 v10, v9
	v_cmp_gt_i64_e32 vcc, 0, v[10:11]
	v_not_b32_e32 v10, v11
	v_ashrrev_i32_e32 v10, 31, v10
	v_xor_b32_e32 v11, vcc_hi, v10
	v_xor_b32_e32 v10, vcc_lo, v10
	v_and_b32_e32 v8, v8, v11
	v_and_b32_e32 v99, v99, v10
	v_lshlrev_b32_e32 v11, 28, v98
	v_mov_b32_e32 v10, v9
	v_cmp_gt_i64_e32 vcc, 0, v[10:11]
	v_not_b32_e32 v10, v11
	v_ashrrev_i32_e32 v10, 31, v10
	;; [unrolled: 9-line block ×5, first 2 shown]
	v_xor_b32_e32 v11, vcc_hi, v10
	v_xor_b32_e32 v10, vcc_lo, v10
	v_and_b32_e32 v8, v8, v11
	v_lshlrev_b32_e32 v11, 24, v98
	v_and_b32_e32 v99, v99, v10
	v_mov_b32_e32 v10, v9
	v_not_b32_e32 v9, v11
	v_cmp_gt_i64_e32 vcc, 0, v[10:11]
	v_ashrrev_i32_e32 v9, 31, v9
	ds_read_b32 v97, v43 offset:16
	v_xor_b32_e32 v10, vcc_hi, v9
	v_xor_b32_e32 v11, vcc_lo, v9
	v_and_b32_e32 v9, v8, v10
	v_and_b32_e32 v8, v99, v11
	v_mbcnt_lo_u32_b32 v10, v8, 0
	v_mbcnt_hi_u32_b32 v98, v9, v10
	v_cmp_eq_u32_e32 vcc, 0, v98
	v_cmp_ne_u64_e64 s[48:49], 0, v[8:9]
	s_and_b64 s[48:49], s[48:49], vcc
	; wave barrier
	s_and_saveexec_b64 s[10:11], s[48:49]
	s_cbranch_execz .LBB14_89
; %bb.88:
	v_bcnt_u32_b32 v8, v8, 0
	v_bcnt_u32_b32 v8, v9, v8
	s_waitcnt lgkmcnt(0)
	v_add_u32_e32 v8, v97, v8
	ds_write_b32 v43, v8 offset:16
.LBB14_89:
	s_or_b64 exec, exec, s[10:11]
	; wave barrier
	s_waitcnt lgkmcnt(0)
	s_barrier
	ds_read2_b32 v[10:11], v33 offset0:4 offset1:5
	ds_read2_b32 v[8:9], v33 offset0:6 offset1:7
	ds_read_b32 v99, v33 offset:32
	v_min_u32_e32 v7, 0xc0, v7
	v_or_b32_e32 v7, 63, v7
	s_waitcnt lgkmcnt(1)
	v_add3_u32 v100, v11, v10, v8
	s_waitcnt lgkmcnt(0)
	v_add3_u32 v99, v100, v9, v99
	v_and_b32_e32 v100, 15, v4
	v_cmp_ne_u32_e32 vcc, 0, v100
	v_mov_b32_dpp v101, v99 row_shr:1 row_mask:0xf bank_mask:0xf
	s_nop 0
	v_cndmask_b32_e32 v101, 0, v101, vcc
	v_add_u32_e32 v99, v101, v99
	v_cmp_lt_u32_e32 vcc, 1, v100
	s_nop 0
	v_mov_b32_dpp v101, v99 row_shr:2 row_mask:0xf bank_mask:0xf
	v_cndmask_b32_e32 v101, 0, v101, vcc
	v_add_u32_e32 v99, v99, v101
	v_cmp_lt_u32_e32 vcc, 3, v100
	s_nop 0
	v_mov_b32_dpp v101, v99 row_shr:4 row_mask:0xf bank_mask:0xf
	;; [unrolled: 5-line block ×3, first 2 shown]
	v_cndmask_b32_e32 v100, 0, v101, vcc
	v_add_u32_e32 v99, v99, v100
	v_bfe_i32 v101, v4, 4, 1
	v_cmp_lt_u32_e32 vcc, 31, v4
	v_mov_b32_dpp v100, v99 row_bcast:15 row_mask:0xf bank_mask:0xf
	v_and_b32_e32 v100, v101, v100
	v_add_u32_e32 v99, v99, v100
	s_nop 1
	v_mov_b32_dpp v100, v99 row_bcast:31 row_mask:0xf bank_mask:0xf
	v_cndmask_b32_e32 v100, 0, v100, vcc
	v_add_u32_e32 v99, v99, v100
	v_lshrrev_b32_e32 v100, 6, v2
	v_cmp_eq_u32_e32 vcc, v2, v7
	s_and_saveexec_b64 s[10:11], vcc
; %bb.90:
	v_lshlrev_b32_e32 v7, 2, v100
	ds_write_b32 v7, v99
; %bb.91:
	s_or_b64 exec, exec, s[10:11]
	v_cmp_gt_u32_e32 vcc, 4, v2
	s_waitcnt lgkmcnt(0)
	s_barrier
	s_and_saveexec_b64 s[10:11], vcc
	s_cbranch_execz .LBB14_93
; %bb.92:
	v_lshlrev_b32_e32 v7, 2, v2
	ds_read_b32 v101, v7
	v_and_b32_e32 v102, 3, v4
	v_cmp_ne_u32_e32 vcc, 0, v102
	s_waitcnt lgkmcnt(0)
	v_mov_b32_dpp v103, v101 row_shr:1 row_mask:0xf bank_mask:0xf
	v_cndmask_b32_e32 v103, 0, v103, vcc
	v_add_u32_e32 v101, v103, v101
	v_cmp_lt_u32_e32 vcc, 1, v102
	s_nop 0
	v_mov_b32_dpp v103, v101 row_shr:2 row_mask:0xf bank_mask:0xf
	v_cndmask_b32_e32 v102, 0, v103, vcc
	v_add_u32_e32 v101, v101, v102
	ds_write_b32 v7, v101
.LBB14_93:
	s_or_b64 exec, exec, s[10:11]
	v_cmp_lt_u32_e32 vcc, 63, v2
	v_mov_b32_e32 v7, 0
	s_waitcnt lgkmcnt(0)
	s_barrier
	s_and_saveexec_b64 s[10:11], vcc
; %bb.94:
	v_lshl_add_u32 v7, v100, 2, -4
	ds_read_b32 v7, v7
; %bb.95:
	s_or_b64 exec, exec, s[10:11]
	v_add_u32_e32 v100, -1, v4
	v_and_b32_e32 v101, 64, v4
	v_cmp_lt_i32_e32 vcc, v100, v101
	s_waitcnt lgkmcnt(0)
	v_add_u32_e32 v99, v7, v99
	s_movk_i32 s4, 0x100
	v_cndmask_b32_e32 v100, v100, v4, vcc
	v_lshlrev_b32_e32 v100, 2, v100
	ds_bpermute_b32 v99, v100, v99
	v_cmp_eq_u32_e32 vcc, 0, v4
	s_waitcnt lgkmcnt(0)
	s_nop 0
	v_cndmask_b32_e32 v7, v99, v7, vcc
	v_cmp_ne_u32_e32 vcc, 0, v2
	s_nop 1
	v_cndmask_b32_e32 v7, 0, v7, vcc
	v_add_u32_e32 v10, v7, v10
	v_add_u32_e32 v11, v10, v11
	v_add_u32_e32 v8, v11, v8
	v_add_u32_e32 v9, v8, v9
	ds_write2_b32 v33, v7, v10 offset0:4 offset1:5
	ds_write2_b32 v33, v11, v8 offset0:6 offset1:7
	ds_write_b32 v33, v9 offset:32
	s_waitcnt lgkmcnt(0)
	s_barrier
	ds_read_b32 v10, v56 offset:16
	ds_read_b32 v11, v59 offset:16
	;; [unrolled: 1-line block ×23, first 2 shown]
	v_add_u32_e32 v7, 1, v2
	v_cmp_ne_u32_e32 vcc, s4, v7
	v_mov_b32_e32 v9, 0x1600
	s_and_saveexec_b64 s[10:11], vcc
; %bb.96:
	v_mul_u32_u24_e32 v7, 20, v7
	ds_read_b32 v9, v7 offset:16
; %bb.97:
	s_or_b64 exec, exec, s[10:11]
	s_waitcnt lgkmcnt(7)
	v_add_u32_e32 v33, v35, v34
	s_waitcnt lgkmcnt(6)
	v_add3_u32 v34, v38, v36, v37
	s_waitcnt lgkmcnt(5)
	v_add3_u32 v35, v41, v39, v40
	v_add3_u32 v40, v57, v55, v10
	v_lshlrev_b32_e32 v10, 2, v33
	s_waitcnt lgkmcnt(0)
	s_barrier
	ds_write_b32 v10, v12 offset:2048
	v_lshlrev_b32_e32 v10, 2, v34
	v_add3_u32 v36, v45, v42, v43
	ds_write_b32 v10, v3 offset:2048
	v_lshlrev_b32_e32 v3, 2, v35
	v_add3_u32 v37, v48, v46, v44
	;; [unrolled: 3-line block ×4, first 2 shown]
	ds_write_b32 v3, v16 offset:2048
	v_lshlrev_b32_e32 v3, 2, v38
	ds_write_b32 v3, v15 offset:2048
	v_lshlrev_b32_e32 v3, 2, v39
	v_add3_u32 v41, v60, v58, v11
	ds_write_b32 v3, v18 offset:2048
	v_lshlrev_b32_e32 v3, 2, v40
	v_add3_u32 v42, v63, v61, v56
	;; [unrolled: 3-line block ×14, first 2 shown]
	ds_write_b32 v3, v29 offset:2048
	v_lshlrev_b32_e32 v3, 2, v53
	ds_write_b32 v3, v32 offset:2048
	v_lshlrev_b32_e32 v3, 2, v54
	v_sub_u32_e32 v10, v9, v8
	v_lshl_add_u32 v14, s2, 8, v2
	v_mov_b32_e32 v15, 0
	v_mov_b32_e32 v7, v5
	ds_write_b32 v3, v31 offset:2048
	v_lshl_add_u64 v[12:13], v[14:15], 2, s[90:91]
	v_or_b32_e32 v3, 2.0, v10
	s_mov_b64 s[48:49], 0
	s_brev_b32 s52, -4
	s_mov_b32 s53, s3
	v_mov_b32_e32 v9, 0
	s_waitcnt lgkmcnt(0)
	s_barrier
	global_store_dword v[12:13], v3, off sc1
                                        ; implicit-def: $sgpr50_sgpr51
	s_branch .LBB14_100
.LBB14_98:                              ;   in Loop: Header=BB14_100 Depth=1
	s_or_b64 exec, exec, s[10:11]
.LBB14_99:                              ;   in Loop: Header=BB14_100 Depth=1
	s_or_b64 exec, exec, s[50:51]
	v_and_b32_e32 v11, 0x3fffffff, v3
	v_add_u32_e32 v9, v11, v9
	v_cmp_gt_i32_e64 s[50:51], -2.0, v3
	s_and_b64 s[10:11], exec, s[50:51]
	s_or_b64 s[48:49], s[10:11], s[48:49]
	s_andn2_b64 exec, exec, s[48:49]
	s_cbranch_execz .LBB14_105
.LBB14_100:                             ; =>This Loop Header: Depth=1
                                        ;     Child Loop BB14_103 Depth 2
	s_or_b64 s[50:51], s[50:51], exec
	s_cmp_eq_u32 s53, 0
	s_cbranch_scc1 .LBB14_104
; %bb.101:                              ;   in Loop: Header=BB14_100 Depth=1
	s_add_i32 s53, s53, -1
	v_lshl_add_u32 v14, s53, 8, v2
	v_lshl_add_u64 v[16:17], v[14:15], 2, s[90:91]
	global_load_dword v3, v[16:17], off sc1
	s_waitcnt vmcnt(0)
	v_cmp_gt_u32_e32 vcc, 2.0, v3
	s_and_saveexec_b64 s[50:51], vcc
	s_cbranch_execz .LBB14_99
; %bb.102:                              ;   in Loop: Header=BB14_100 Depth=1
	s_mov_b64 s[10:11], 0
.LBB14_103:                             ;   Parent Loop BB14_100 Depth=1
                                        ; =>  This Inner Loop Header: Depth=2
	global_load_dword v3, v[16:17], off sc1
	s_waitcnt vmcnt(0)
	v_cmp_lt_u32_e32 vcc, s52, v3
	s_or_b64 s[10:11], vcc, s[10:11]
	s_andn2_b64 exec, exec, s[10:11]
	s_cbranch_execnz .LBB14_103
	s_branch .LBB14_98
.LBB14_104:                             ;   in Loop: Header=BB14_100 Depth=1
                                        ; implicit-def: $sgpr53
	s_and_b64 s[10:11], exec, s[50:51]
	s_or_b64 s[48:49], s[10:11], s[48:49]
	s_andn2_b64 exec, exec, s[48:49]
	s_cbranch_execnz .LBB14_100
.LBB14_105:
	s_or_b64 exec, exec, s[48:49]
	s_load_dwordx4 s[48:51], s[0:1], 0x28
	v_add_u32_e32 v3, v9, v10
	v_or_b32_e32 v3, 0x80000000, v3
	v_lshlrev_b32_e32 v11, 3, v2
	global_store_dword v[12:13], v3, off sc1
	s_waitcnt lgkmcnt(0)
	global_load_dwordx2 v[12:13], v11, s[48:49]
	v_sub_co_u32_e32 v14, vcc, v9, v8
	v_mov_b32_e32 v3, 0
	s_nop 0
	v_subb_co_u32_e64 v15, s[10:11], 0, 0, vcc
	v_mov_b32_e32 v9, v3
	v_cmp_gt_u32_e32 vcc, s7, v2
	s_waitcnt vmcnt(0)
	v_lshl_add_u64 v[12:13], v[14:15], 0, v[12:13]
	ds_write_b64 v11, v[12:13]
	s_waitcnt lgkmcnt(0)
	s_barrier
	s_and_saveexec_b64 s[48:49], vcc
	s_cbranch_execz .LBB14_107
; %bb.106:
	v_lshlrev_b32_e32 v12, 2, v2
	v_sub_u32_e32 v12, v11, v12
	ds_read_b32 v15, v12 offset:2048
	v_lshlrev_b32_e32 v14, 2, v2
	s_waitcnt lgkmcnt(0)
	v_lshrrev_b32_e32 v12, s8, v15
	v_and_b32_e32 v12, s33, v12
	v_lshlrev_b32_e32 v12, 3, v12
	ds_read_b64 v[12:13], v12
	v_xor_b32_e32 v16, 0x7fffffff, v15
	v_mov_b32_e32 v15, v3
	s_waitcnt lgkmcnt(0)
	v_lshl_add_u64 v[12:13], v[12:13], 2, s[94:95]
	v_lshl_add_u64 v[12:13], v[12:13], 0, v[14:15]
	global_store_dword v[12:13], v16, off
.LBB14_107:
	s_or_b64 exec, exec, s[48:49]
	v_add_u32_e32 v12, 0x100, v2
	v_cmp_gt_u32_e64 s[48:49], s7, v12
	s_and_saveexec_b64 s[50:51], s[48:49]
	s_cbranch_execz .LBB14_109
; %bb.108:
	v_lshlrev_b32_e32 v12, 2, v2
	v_sub_u32_e32 v12, v11, v12
	ds_read_b32 v15, v12 offset:3072
	v_lshlrev_b32_e32 v14, 2, v2
	s_waitcnt lgkmcnt(0)
	v_lshrrev_b32_e32 v12, s8, v15
	v_and_b32_e32 v12, s33, v12
	v_lshlrev_b32_e32 v12, 3, v12
	ds_read_b64 v[12:13], v12
	v_xor_b32_e32 v16, 0x7fffffff, v15
	v_mov_b32_e32 v15, 0
	s_waitcnt lgkmcnt(0)
	v_lshl_add_u64 v[12:13], v[12:13], 2, s[94:95]
	v_lshl_add_u64 v[12:13], v[12:13], 0, v[14:15]
	global_store_dword v[12:13], v16, off offset:1024
.LBB14_109:
	s_or_b64 exec, exec, s[50:51]
	v_add_u32_e32 v12, 0x200, v2
	v_cmp_gt_u32_e64 s[50:51], s7, v12
	s_and_saveexec_b64 s[52:53], s[50:51]
	s_cbranch_execz .LBB14_111
; %bb.110:
	v_lshlrev_b32_e32 v12, 2, v2
	v_sub_u32_e32 v12, v11, v12
	ds_read_b32 v15, v12 offset:4096
	v_lshlrev_b32_e32 v14, 2, v2
	s_waitcnt lgkmcnt(0)
	v_lshrrev_b32_e32 v12, s8, v15
	v_and_b32_e32 v12, s33, v12
	v_lshlrev_b32_e32 v12, 3, v12
	ds_read_b64 v[12:13], v12
	v_xor_b32_e32 v16, 0x7fffffff, v15
	v_mov_b32_e32 v15, 0
	s_waitcnt lgkmcnt(0)
	v_lshl_add_u64 v[12:13], v[12:13], 2, s[94:95]
	v_lshl_add_u64 v[12:13], v[12:13], 0, v[14:15]
	global_store_dword v[12:13], v16, off offset:2048
.LBB14_111:
	;; [unrolled: 22-line block ×3, first 2 shown]
	s_or_b64 exec, exec, s[54:55]
	v_or_b32_e32 v12, 0x400, v2
	v_cmp_gt_u32_e64 s[54:55], s7, v12
	s_and_saveexec_b64 s[56:57], s[54:55]
	s_cbranch_execz .LBB14_115
; %bb.114:
	v_lshlrev_b32_e32 v13, 2, v2
	v_sub_u32_e32 v13, v11, v13
	ds_read_b32 v13, v13 offset:6144
	v_lshlrev_b32_e32 v12, 2, v12
	s_waitcnt lgkmcnt(0)
	v_lshrrev_b32_e32 v14, s8, v13
	v_and_b32_e32 v14, s33, v14
	v_lshlrev_b32_e32 v14, 3, v14
	ds_read_b64 v[14:15], v14
	v_xor_b32_e32 v16, 0x7fffffff, v13
	v_mov_b32_e32 v13, 0
	s_waitcnt lgkmcnt(0)
	v_lshl_add_u64 v[14:15], v[14:15], 2, s[94:95]
	v_lshl_add_u64 v[12:13], v[14:15], 0, v[12:13]
	global_store_dword v[12:13], v16, off
.LBB14_115:
	s_or_b64 exec, exec, s[56:57]
	v_add_u32_e32 v12, 0x500, v2
	v_cmp_gt_u32_e64 s[56:57], s7, v12
	s_and_saveexec_b64 s[58:59], s[56:57]
	s_cbranch_execz .LBB14_117
; %bb.116:
	v_lshlrev_b32_e32 v13, 2, v2
	v_sub_u32_e32 v13, v11, v13
	ds_read_b32 v13, v13 offset:7168
	v_lshlrev_b32_e32 v12, 2, v12
	s_waitcnt lgkmcnt(0)
	v_lshrrev_b32_e32 v14, s8, v13
	v_and_b32_e32 v14, s33, v14
	v_lshlrev_b32_e32 v14, 3, v14
	ds_read_b64 v[14:15], v14
	v_xor_b32_e32 v16, 0x7fffffff, v13
	v_mov_b32_e32 v13, 0
	s_waitcnt lgkmcnt(0)
	v_lshl_add_u64 v[14:15], v[14:15], 2, s[94:95]
	v_lshl_add_u64 v[12:13], v[14:15], 0, v[12:13]
	global_store_dword v[12:13], v16, off
.LBB14_117:
	s_or_b64 exec, exec, s[58:59]
	v_add_u32_e32 v12, 0x600, v2
	;; [unrolled: 22-line block ×3, first 2 shown]
	v_cmp_gt_u32_e64 s[60:61], s7, v12
	s_and_saveexec_b64 s[62:63], s[60:61]
	s_cbranch_execz .LBB14_121
; %bb.120:
	v_lshlrev_b32_e32 v13, 2, v2
	ds_read_b32 v13, v13 offset:9216
	v_lshlrev_b32_e32 v12, 2, v12
	s_waitcnt lgkmcnt(0)
	v_lshrrev_b32_e32 v14, s8, v13
	v_and_b32_e32 v14, s33, v14
	v_lshlrev_b32_e32 v14, 3, v14
	ds_read_b64 v[14:15], v14
	v_xor_b32_e32 v16, 0x7fffffff, v13
	v_mov_b32_e32 v13, 0
	s_waitcnt lgkmcnt(0)
	v_lshl_add_u64 v[14:15], v[14:15], 2, s[94:95]
	v_lshl_add_u64 v[12:13], v[14:15], 0, v[12:13]
	global_store_dword v[12:13], v16, off
.LBB14_121:
	s_or_b64 exec, exec, s[62:63]
	v_or_b32_e32 v12, 0x800, v2
	v_cmp_gt_u32_e64 s[62:63], s7, v12
	s_and_saveexec_b64 s[64:65], s[62:63]
	s_cbranch_execz .LBB14_123
; %bb.122:
	v_lshlrev_b32_e32 v13, 2, v2
	ds_read_b32 v13, v13 offset:10240
	v_lshlrev_b32_e32 v12, 2, v12
	s_waitcnt lgkmcnt(0)
	v_lshrrev_b32_e32 v14, s8, v13
	v_and_b32_e32 v14, s33, v14
	v_lshlrev_b32_e32 v14, 3, v14
	ds_read_b64 v[14:15], v14
	v_xor_b32_e32 v16, 0x7fffffff, v13
	v_mov_b32_e32 v13, 0
	s_waitcnt lgkmcnt(0)
	v_lshl_add_u64 v[14:15], v[14:15], 2, s[94:95]
	v_lshl_add_u64 v[12:13], v[14:15], 0, v[12:13]
	global_store_dword v[12:13], v16, off
.LBB14_123:
	s_or_b64 exec, exec, s[64:65]
	v_add_u32_e32 v12, 0x900, v2
	v_cmp_gt_u32_e64 s[64:65], s7, v12
	s_and_saveexec_b64 s[66:67], s[64:65]
	s_cbranch_execz .LBB14_125
; %bb.124:
	v_lshlrev_b32_e32 v13, 2, v2
	ds_read_b32 v13, v13 offset:11264
	v_lshlrev_b32_e32 v12, 2, v12
	s_waitcnt lgkmcnt(0)
	v_lshrrev_b32_e32 v14, s8, v13
	v_and_b32_e32 v14, s33, v14
	v_lshlrev_b32_e32 v14, 3, v14
	ds_read_b64 v[14:15], v14
	v_xor_b32_e32 v16, 0x7fffffff, v13
	v_mov_b32_e32 v13, 0
	s_waitcnt lgkmcnt(0)
	v_lshl_add_u64 v[14:15], v[14:15], 2, s[94:95]
	v_lshl_add_u64 v[12:13], v[14:15], 0, v[12:13]
	global_store_dword v[12:13], v16, off
.LBB14_125:
	s_or_b64 exec, exec, s[66:67]
	v_add_u32_e32 v12, 0xa00, v2
	;; [unrolled: 21-line block ×3, first 2 shown]
	v_cmp_gt_u32_e64 s[68:69], s7, v12
	s_and_saveexec_b64 s[70:71], s[68:69]
	s_cbranch_execz .LBB14_129
; %bb.128:
	v_lshlrev_b32_e32 v13, 2, v2
	ds_read_b32 v13, v13 offset:13312
	v_lshlrev_b32_e32 v12, 2, v12
	s_waitcnt lgkmcnt(0)
	v_lshrrev_b32_e32 v14, s8, v13
	v_and_b32_e32 v14, s33, v14
	v_lshlrev_b32_e32 v14, 3, v14
	ds_read_b64 v[14:15], v14
	v_xor_b32_e32 v16, 0x7fffffff, v13
	v_mov_b32_e32 v13, 0
	s_waitcnt lgkmcnt(0)
	v_lshl_add_u64 v[14:15], v[14:15], 2, s[94:95]
	v_lshl_add_u64 v[12:13], v[14:15], 0, v[12:13]
	global_store_dword v[12:13], v16, off
.LBB14_129:
	s_or_b64 exec, exec, s[70:71]
	v_or_b32_e32 v12, 0xc00, v2
	v_cmp_gt_u32_e64 s[70:71], s7, v12
	s_and_saveexec_b64 s[72:73], s[70:71]
	s_cbranch_execz .LBB14_131
; %bb.130:
	v_lshlrev_b32_e32 v13, 2, v2
	ds_read_b32 v13, v13 offset:14336
	v_lshlrev_b32_e32 v12, 2, v12
	s_waitcnt lgkmcnt(0)
	v_lshrrev_b32_e32 v14, s8, v13
	v_and_b32_e32 v14, s33, v14
	v_lshlrev_b32_e32 v14, 3, v14
	ds_read_b64 v[14:15], v14
	v_xor_b32_e32 v16, 0x7fffffff, v13
	v_mov_b32_e32 v13, 0
	s_waitcnt lgkmcnt(0)
	v_lshl_add_u64 v[14:15], v[14:15], 2, s[94:95]
	v_lshl_add_u64 v[12:13], v[14:15], 0, v[12:13]
	global_store_dword v[12:13], v16, off
.LBB14_131:
	s_or_b64 exec, exec, s[72:73]
	v_add_u32_e32 v12, 0xd00, v2
	v_cmp_gt_u32_e64 s[72:73], s7, v12
	s_and_saveexec_b64 s[74:75], s[72:73]
	s_cbranch_execz .LBB14_133
; %bb.132:
	v_lshlrev_b32_e32 v13, 2, v2
	ds_read_b32 v13, v13 offset:15360
	v_lshlrev_b32_e32 v12, 2, v12
	s_waitcnt lgkmcnt(0)
	v_lshrrev_b32_e32 v14, s8, v13
	v_and_b32_e32 v14, s33, v14
	v_lshlrev_b32_e32 v14, 3, v14
	ds_read_b64 v[14:15], v14
	v_xor_b32_e32 v16, 0x7fffffff, v13
	v_mov_b32_e32 v13, 0
	s_waitcnt lgkmcnt(0)
	v_lshl_add_u64 v[14:15], v[14:15], 2, s[94:95]
	v_lshl_add_u64 v[12:13], v[14:15], 0, v[12:13]
	global_store_dword v[12:13], v16, off
.LBB14_133:
	s_or_b64 exec, exec, s[74:75]
	v_add_u32_e32 v12, 0xe00, v2
	;; [unrolled: 21-line block ×3, first 2 shown]
	v_cmp_gt_u32_e64 s[76:77], s7, v12
	s_and_saveexec_b64 s[78:79], s[76:77]
	s_cbranch_execz .LBB14_137
; %bb.136:
	v_lshlrev_b32_e32 v13, 2, v2
	ds_read_b32 v13, v13 offset:17408
	v_lshlrev_b32_e32 v12, 2, v12
	s_waitcnt lgkmcnt(0)
	v_lshrrev_b32_e32 v14, s8, v13
	v_and_b32_e32 v14, s33, v14
	v_lshlrev_b32_e32 v14, 3, v14
	ds_read_b64 v[14:15], v14
	v_xor_b32_e32 v16, 0x7fffffff, v13
	v_mov_b32_e32 v13, 0
	s_waitcnt lgkmcnt(0)
	v_lshl_add_u64 v[14:15], v[14:15], 2, s[94:95]
	v_lshl_add_u64 v[12:13], v[14:15], 0, v[12:13]
	global_store_dword v[12:13], v16, off
.LBB14_137:
	s_or_b64 exec, exec, s[78:79]
	v_or_b32_e32 v12, 0x1000, v2
	v_cmp_gt_u32_e64 s[78:79], s7, v12
	s_and_saveexec_b64 s[80:81], s[78:79]
	s_cbranch_execz .LBB14_139
; %bb.138:
	v_lshlrev_b32_e32 v13, 2, v2
	ds_read_b32 v13, v13 offset:18432
	v_lshlrev_b32_e32 v16, 2, v12
	v_mov_b32_e32 v17, 0
	s_waitcnt lgkmcnt(0)
	v_lshrrev_b32_e32 v14, s8, v13
	v_and_b32_e32 v14, s33, v14
	v_lshlrev_b32_e32 v14, 3, v14
	ds_read_b64 v[14:15], v14
	v_xor_b32_e32 v13, 0x7fffffff, v13
	s_waitcnt lgkmcnt(0)
	v_lshl_add_u64 v[14:15], v[14:15], 2, s[94:95]
	v_lshl_add_u64 v[14:15], v[14:15], 0, v[16:17]
	global_store_dword v[14:15], v13, off
.LBB14_139:
	s_or_b64 exec, exec, s[80:81]
	v_add_u32_e32 v14, 0x1100, v2
	v_cmp_gt_u32_e64 s[80:81], s7, v14
	s_and_saveexec_b64 s[82:83], s[80:81]
	s_cbranch_execz .LBB14_141
; %bb.140:
	v_lshlrev_b32_e32 v13, 2, v2
	ds_read_b32 v13, v13 offset:19456
	v_lshlrev_b32_e32 v18, 2, v14
	v_mov_b32_e32 v19, 0
	s_waitcnt lgkmcnt(0)
	v_lshrrev_b32_e32 v15, s8, v13
	v_and_b32_e32 v15, s33, v15
	v_lshlrev_b32_e32 v15, 3, v15
	ds_read_b64 v[16:17], v15
	v_xor_b32_e32 v13, 0x7fffffff, v13
	s_waitcnt lgkmcnt(0)
	v_lshl_add_u64 v[16:17], v[16:17], 2, s[94:95]
	v_lshl_add_u64 v[16:17], v[16:17], 0, v[18:19]
	global_store_dword v[16:17], v13, off
.LBB14_141:
	s_or_b64 exec, exec, s[82:83]
	v_add_u32_e32 v16, 0x1200, v2
	v_cmp_gt_u32_e64 s[82:83], s7, v16
	s_and_saveexec_b64 s[84:85], s[82:83]
	s_cbranch_execz .LBB14_143
; %bb.142:
	v_lshlrev_b32_e32 v13, 2, v2
	ds_read_b32 v13, v13 offset:20480
	v_lshlrev_b32_e32 v20, 2, v16
	v_mov_b32_e32 v21, 0
	s_waitcnt lgkmcnt(0)
	v_lshrrev_b32_e32 v15, s8, v13
	v_and_b32_e32 v15, s33, v15
	v_lshlrev_b32_e32 v15, 3, v15
	ds_read_b64 v[18:19], v15
	v_xor_b32_e32 v13, 0x7fffffff, v13
	s_waitcnt lgkmcnt(0)
	v_lshl_add_u64 v[18:19], v[18:19], 2, s[94:95]
	v_lshl_add_u64 v[18:19], v[18:19], 0, v[20:21]
	global_store_dword v[18:19], v13, off
.LBB14_143:
	s_or_b64 exec, exec, s[84:85]
	v_add_u32_e32 v18, 0x1300, v2
	v_cmp_gt_u32_e64 s[84:85], s7, v18
	s_and_saveexec_b64 s[86:87], s[84:85]
	s_cbranch_execz .LBB14_145
; %bb.144:
	v_lshlrev_b32_e32 v13, 2, v2
	ds_read_b32 v13, v13 offset:21504
	v_lshlrev_b32_e32 v22, 2, v18
	v_mov_b32_e32 v23, 0
	s_waitcnt lgkmcnt(0)
	v_lshrrev_b32_e32 v15, s8, v13
	v_and_b32_e32 v15, s33, v15
	v_lshlrev_b32_e32 v15, 3, v15
	ds_read_b64 v[20:21], v15
	v_xor_b32_e32 v13, 0x7fffffff, v13
	s_waitcnt lgkmcnt(0)
	v_lshl_add_u64 v[20:21], v[20:21], 2, s[94:95]
	v_lshl_add_u64 v[20:21], v[20:21], 0, v[22:23]
	global_store_dword v[20:21], v13, off
.LBB14_145:
	s_or_b64 exec, exec, s[86:87]
	v_or_b32_e32 v20, 0x1400, v2
	v_cmp_gt_u32_e64 s[86:87], s7, v20
	s_and_saveexec_b64 s[88:89], s[86:87]
	s_cbranch_execz .LBB14_147
; %bb.146:
	v_lshlrev_b32_e32 v13, 2, v2
	ds_read_b32 v13, v13 offset:22528
	v_lshlrev_b32_e32 v24, 2, v20
	v_mov_b32_e32 v25, 0
	s_waitcnt lgkmcnt(0)
	v_lshrrev_b32_e32 v15, s8, v13
	v_and_b32_e32 v15, s33, v15
	v_lshlrev_b32_e32 v15, 3, v15
	ds_read_b64 v[22:23], v15
	v_xor_b32_e32 v13, 0x7fffffff, v13
	s_waitcnt lgkmcnt(0)
	v_lshl_add_u64 v[22:23], v[22:23], 2, s[94:95]
	v_lshl_add_u64 v[22:23], v[22:23], 0, v[24:25]
	global_store_dword v[22:23], v13, off
.LBB14_147:
	s_or_b64 exec, exec, s[88:89]
	v_add_u32_e32 v22, 0x1500, v2
	v_cmp_gt_u32_e64 s[88:89], s7, v22
	s_and_saveexec_b64 s[10:11], s[88:89]
	s_cbranch_execz .LBB14_149
; %bb.148:
	v_lshlrev_b32_e32 v13, 2, v2
	ds_read_b32 v13, v13 offset:23552
	v_lshlrev_b32_e32 v26, 2, v22
	v_mov_b32_e32 v27, 0
	s_waitcnt lgkmcnt(0)
	v_lshrrev_b32_e32 v15, s8, v13
	v_and_b32_e32 v15, s33, v15
	v_lshlrev_b32_e32 v15, 3, v15
	ds_read_b64 v[24:25], v15
	v_xor_b32_e32 v13, 0x7fffffff, v13
	s_waitcnt lgkmcnt(0)
	v_lshl_add_u64 v[24:25], v[24:25], 2, s[94:95]
	v_lshl_add_u64 v[24:25], v[24:25], 0, v[26:27]
	global_store_dword v[24:25], v13, off
.LBB14_149:
	s_or_b64 exec, exec, s[10:11]
	s_add_u32 s4, s96, s6
	s_addc_u32 s5, s97, 0
	v_lshl_add_u64 v[4:5], s[4:5], 0, v[4:5]
	v_readlane_b32 s10, v104, 4
	v_lshl_add_u64 v[4:5], v[4:5], 0, v[6:7]
	v_readlane_b32 s11, v104, 5
                                        ; implicit-def: $vgpr58
	s_and_saveexec_b64 s[4:5], s[10:11]
	s_xor_b64 s[10:11], exec, s[4:5]
	s_cbranch_execz .LBB14_151
; %bb.150:
	global_load_ubyte v58, v[4:5], off
.LBB14_151:
	s_or_b64 exec, exec, s[10:11]
                                        ; implicit-def: $vgpr59
	s_mov_b64 s[10:11], exec
	v_readlane_b32 s4, v104, 6
	v_readlane_b32 s5, v104, 7
	s_and_b64 s[4:5], s[10:11], s[4:5]
	s_mov_b64 exec, s[4:5]
	s_cbranch_execz .LBB14_153
; %bb.152:
	global_load_ubyte v59, v[4:5], off offset:64
.LBB14_153:
	s_or_b64 exec, exec, s[10:11]
                                        ; implicit-def: $vgpr60
	s_mov_b64 s[10:11], exec
	v_readlane_b32 s4, v104, 8
	v_readlane_b32 s5, v104, 9
	s_and_b64 s[4:5], s[10:11], s[4:5]
	s_mov_b64 exec, s[4:5]
	s_cbranch_execz .LBB14_155
; %bb.154:
	global_load_ubyte v60, v[4:5], off offset:128
.LBB14_155:
	s_or_b64 exec, exec, s[10:11]
                                        ; implicit-def: $vgpr61
	s_mov_b64 s[10:11], exec
	v_readlane_b32 s4, v104, 10
	v_readlane_b32 s5, v104, 11
	s_and_b64 s[4:5], s[10:11], s[4:5]
	s_mov_b64 exec, s[4:5]
	s_cbranch_execz .LBB14_157
; %bb.156:
	global_load_ubyte v61, v[4:5], off offset:192
.LBB14_157:
	s_or_b64 exec, exec, s[10:11]
                                        ; implicit-def: $vgpr62
	s_mov_b64 s[10:11], exec
	v_readlane_b32 s4, v104, 12
	v_readlane_b32 s5, v104, 13
	s_and_b64 s[4:5], s[10:11], s[4:5]
	s_mov_b64 exec, s[4:5]
	s_cbranch_execz .LBB14_159
; %bb.158:
	global_load_ubyte v62, v[4:5], off offset:256
.LBB14_159:
	s_or_b64 exec, exec, s[10:11]
                                        ; implicit-def: $vgpr63
	s_mov_b64 s[4:5], exec
	v_readlane_b32 s10, v104, 14
	v_readlane_b32 s11, v104, 15
	s_and_b64 s[10:11], s[4:5], s[10:11]
	s_mov_b64 exec, s[10:11]
	s_cbranch_execz .LBB14_243
; %bb.160:
	global_load_ubyte v63, v[4:5], off offset:320
	s_or_b64 exec, exec, s[4:5]
                                        ; implicit-def: $vgpr64
	s_and_saveexec_b64 s[4:5], s[14:15]
	s_cbranch_execnz .LBB14_244
.LBB14_161:
	s_or_b64 exec, exec, s[4:5]
                                        ; implicit-def: $vgpr65
	s_and_saveexec_b64 s[4:5], s[16:17]
	s_cbranch_execz .LBB14_245
.LBB14_162:
	global_load_ubyte v65, v[4:5], off offset:448
	s_or_b64 exec, exec, s[4:5]
                                        ; implicit-def: $vgpr66
	s_and_saveexec_b64 s[4:5], s[18:19]
	s_cbranch_execnz .LBB14_246
.LBB14_163:
	s_or_b64 exec, exec, s[4:5]
                                        ; implicit-def: $vgpr67
	s_and_saveexec_b64 s[4:5], s[20:21]
	s_cbranch_execz .LBB14_247
.LBB14_164:
	global_load_ubyte v67, v[4:5], off offset:576
	s_or_b64 exec, exec, s[4:5]
                                        ; implicit-def: $vgpr68
	s_and_saveexec_b64 s[4:5], s[22:23]
	s_cbranch_execnz .LBB14_248
.LBB14_165:
	s_or_b64 exec, exec, s[4:5]
                                        ; implicit-def: $vgpr69
	s_and_saveexec_b64 s[4:5], s[24:25]
	s_cbranch_execz .LBB14_249
.LBB14_166:
	global_load_ubyte v69, v[4:5], off offset:704
	s_or_b64 exec, exec, s[4:5]
                                        ; implicit-def: $vgpr70
	s_and_saveexec_b64 s[4:5], s[26:27]
	s_cbranch_execnz .LBB14_250
.LBB14_167:
	s_or_b64 exec, exec, s[4:5]
                                        ; implicit-def: $vgpr71
	s_and_saveexec_b64 s[4:5], s[28:29]
	s_cbranch_execz .LBB14_251
.LBB14_168:
	global_load_ubyte v71, v[4:5], off offset:832
	s_or_b64 exec, exec, s[4:5]
                                        ; implicit-def: $vgpr72
	s_and_saveexec_b64 s[4:5], s[30:31]
	s_cbranch_execnz .LBB14_252
.LBB14_169:
	s_or_b64 exec, exec, s[4:5]
                                        ; implicit-def: $vgpr73
	s_and_saveexec_b64 s[4:5], s[34:35]
	s_cbranch_execz .LBB14_253
.LBB14_170:
	global_load_ubyte v73, v[4:5], off offset:960
	s_or_b64 exec, exec, s[4:5]
                                        ; implicit-def: $vgpr74
	s_and_saveexec_b64 s[4:5], s[36:37]
	s_cbranch_execnz .LBB14_254
.LBB14_171:
	s_or_b64 exec, exec, s[4:5]
                                        ; implicit-def: $vgpr75
	s_and_saveexec_b64 s[4:5], s[38:39]
	s_cbranch_execz .LBB14_255
.LBB14_172:
	global_load_ubyte v75, v[4:5], off offset:1088
	s_or_b64 exec, exec, s[4:5]
                                        ; implicit-def: $vgpr76
	s_and_saveexec_b64 s[4:5], s[40:41]
	s_cbranch_execnz .LBB14_256
.LBB14_173:
	s_or_b64 exec, exec, s[4:5]
                                        ; implicit-def: $vgpr77
	s_and_saveexec_b64 s[4:5], s[42:43]
	s_cbranch_execz .LBB14_257
.LBB14_174:
	global_load_ubyte v77, v[4:5], off offset:1216
	s_or_b64 exec, exec, s[4:5]
                                        ; implicit-def: $vgpr78
	s_and_saveexec_b64 s[4:5], s[44:45]
	s_cbranch_execnz .LBB14_258
.LBB14_175:
	s_or_b64 exec, exec, s[4:5]
                                        ; implicit-def: $vgpr79
	s_and_saveexec_b64 s[4:5], s[46:47]
	s_cbranch_execz .LBB14_177
.LBB14_176:
	global_load_ubyte v79, v[4:5], off offset:1344
.LBB14_177:
	s_or_b64 exec, exec, s[4:5]
	v_mov_b32_e32 v6, 0
	v_mov_b32_e32 v27, 0
	s_and_saveexec_b64 s[4:5], vcc
	s_cbranch_execz .LBB14_179
; %bb.178:
	v_lshlrev_b32_e32 v4, 2, v2
	ds_read_b32 v4, v4 offset:2048
	s_waitcnt lgkmcnt(0)
	v_lshrrev_b32_e32 v4, s8, v4
	v_and_b32_e32 v27, s33, v4
.LBB14_179:
	s_or_b64 exec, exec, s[4:5]
	s_and_saveexec_b64 s[4:5], s[48:49]
	s_cbranch_execz .LBB14_181
; %bb.180:
	v_lshlrev_b32_e32 v4, 2, v2
	ds_read_b32 v4, v4 offset:3072
	s_waitcnt lgkmcnt(0)
	v_lshrrev_b32_e32 v4, s8, v4
	v_and_b32_e32 v6, s33, v4
.LBB14_181:
	s_or_b64 exec, exec, s[4:5]
	v_mov_b32_e32 v7, 0
	v_mov_b32_e32 v28, 0
	s_and_saveexec_b64 s[4:5], s[50:51]
	s_cbranch_execz .LBB14_183
; %bb.182:
	v_lshlrev_b32_e32 v4, 2, v2
	ds_read_b32 v4, v4 offset:4096
	s_waitcnt lgkmcnt(0)
	v_lshrrev_b32_e32 v4, s8, v4
	v_and_b32_e32 v28, s33, v4
.LBB14_183:
	s_or_b64 exec, exec, s[4:5]
	s_and_saveexec_b64 s[4:5], s[52:53]
	s_cbranch_execz .LBB14_185
; %bb.184:
	v_lshlrev_b32_e32 v4, 2, v2
	ds_read_b32 v4, v4 offset:5120
	s_waitcnt lgkmcnt(0)
	v_lshrrev_b32_e32 v4, s8, v4
	v_and_b32_e32 v7, s33, v4
.LBB14_185:
	s_or_b64 exec, exec, s[4:5]
	v_mov_b32_e32 v13, 0
	v_mov_b32_e32 v29, 0
	s_and_saveexec_b64 s[4:5], s[54:55]
	;; [unrolled: 22-line block ×10, first 2 shown]
	s_cbranch_execz .LBB14_219
; %bb.218:
	v_lshlrev_b32_e32 v25, 2, v2
	ds_read_b32 v25, v25 offset:22528
	s_waitcnt lgkmcnt(0)
	v_lshrrev_b32_e32 v25, s8, v25
	v_and_b32_e32 v25, s33, v25
.LBB14_219:
	s_or_b64 exec, exec, s[4:5]
	s_and_saveexec_b64 s[4:5], s[88:89]
	s_cbranch_execz .LBB14_221
; %bb.220:
	v_lshlrev_b32_e32 v4, 2, v2
	ds_read_b32 v4, v4 offset:23552
	s_waitcnt lgkmcnt(0)
	v_lshrrev_b32_e32 v4, s8, v4
	v_and_b32_e32 v4, s33, v4
.LBB14_221:
	s_or_b64 exec, exec, s[4:5]
	s_barrier
	s_waitcnt vmcnt(0)
	ds_write_b8 v33, v58 offset:2048
	ds_write_b8 v34, v59 offset:2048
	;; [unrolled: 1-line block ×22, first 2 shown]
	s_waitcnt lgkmcnt(0)
	s_barrier
	s_and_saveexec_b64 s[4:5], vcc
	s_cbranch_execz .LBB14_259
; %bb.222:
	v_lshlrev_b32_e32 v27, 3, v27
	ds_read_b64 v[34:35], v27
	ds_read_u8 v27, v2 offset:2048
	s_waitcnt lgkmcnt(1)
	v_lshl_add_u64 v[34:35], s[98:99], 0, v[34:35]
	v_lshl_add_u64 v[34:35], v[34:35], 0, v[2:3]
	s_waitcnt lgkmcnt(0)
	global_store_byte v[34:35], v27, off
	s_or_b64 exec, exec, s[4:5]
	s_and_saveexec_b64 s[4:5], s[48:49]
	s_cbranch_execnz .LBB14_260
.LBB14_223:
	s_or_b64 exec, exec, s[4:5]
	s_and_saveexec_b64 s[4:5], s[50:51]
	s_cbranch_execz .LBB14_261
.LBB14_224:
	v_lshlrev_b32_e32 v6, 3, v28
	ds_read_b64 v[34:35], v6
	ds_read_u8 v6, v2 offset:2560
	s_waitcnt lgkmcnt(1)
	v_lshl_add_u64 v[34:35], s[98:99], 0, v[34:35]
	v_lshl_add_u64 v[34:35], v[34:35], 0, v[2:3]
	s_waitcnt lgkmcnt(0)
	global_store_byte v[34:35], v6, off offset:512
	s_or_b64 exec, exec, s[4:5]
	s_and_saveexec_b64 s[4:5], s[52:53]
	s_cbranch_execnz .LBB14_262
.LBB14_225:
	s_or_b64 exec, exec, s[4:5]
	s_and_saveexec_b64 s[4:5], s[54:55]
	s_cbranch_execz .LBB14_263
.LBB14_226:
	v_lshlrev_b32_e32 v6, 3, v29
	ds_read_b64 v[6:7], v6
	ds_read_u8 v27, v2 offset:3072
	s_waitcnt lgkmcnt(1)
	v_lshl_add_u64 v[6:7], s[98:99], 0, v[6:7]
	v_lshl_add_u64 v[6:7], v[6:7], 0, v[2:3]
	s_waitcnt lgkmcnt(0)
	global_store_byte v[6:7], v27, off offset:1024
	s_or_b64 exec, exec, s[4:5]
	s_and_saveexec_b64 s[4:5], s[56:57]
	s_cbranch_execnz .LBB14_264
.LBB14_227:
	s_or_b64 exec, exec, s[4:5]
	s_and_saveexec_b64 s[4:5], s[58:59]
	s_cbranch_execz .LBB14_265
.LBB14_228:
	v_lshlrev_b32_e32 v6, 3, v30
	ds_read_b64 v[6:7], v6
	ds_read_u8 v13, v2 offset:3584
	s_waitcnt lgkmcnt(1)
	v_lshl_add_u64 v[6:7], s[98:99], 0, v[6:7]
	v_lshl_add_u64 v[6:7], v[6:7], 0, v[2:3]
	s_waitcnt lgkmcnt(0)
	global_store_byte v[6:7], v13, off offset:1536
	s_or_b64 exec, exec, s[4:5]
	s_and_saveexec_b64 s[4:5], s[60:61]
	s_cbranch_execnz .LBB14_266
.LBB14_229:
	s_or_b64 exec, exec, s[4:5]
	s_and_saveexec_b64 s[4:5], s[62:63]
	s_cbranch_execz .LBB14_267
.LBB14_230:
	v_lshlrev_b32_e32 v6, 3, v31
	ds_read_b64 v[6:7], v6
	ds_read_u8 v13, v2 offset:4096
	s_waitcnt lgkmcnt(1)
	v_lshl_add_u64 v[6:7], s[98:99], 0, v[6:7]
	v_lshl_add_u64 v[6:7], v[6:7], 0, v[2:3]
	s_waitcnt lgkmcnt(0)
	global_store_byte v[6:7], v13, off offset:2048
	s_or_b64 exec, exec, s[4:5]
	s_and_saveexec_b64 s[4:5], s[64:65]
	s_cbranch_execnz .LBB14_268
.LBB14_231:
	s_or_b64 exec, exec, s[4:5]
	s_and_saveexec_b64 s[4:5], s[66:67]
	s_cbranch_execz .LBB14_269
.LBB14_232:
	v_lshlrev_b32_e32 v6, 3, v32
	ds_read_b64 v[6:7], v6
	ds_read_u8 v13, v2 offset:4608
	s_waitcnt lgkmcnt(1)
	v_lshl_add_u64 v[6:7], s[98:99], 0, v[6:7]
	v_lshl_add_u64 v[6:7], v[6:7], 0, v[2:3]
	s_waitcnt lgkmcnt(0)
	global_store_byte v[6:7], v13, off offset:2560
	s_or_b64 exec, exec, s[4:5]
	s_and_saveexec_b64 s[4:5], s[68:69]
	s_cbranch_execnz .LBB14_270
.LBB14_233:
	s_or_b64 exec, exec, s[4:5]
	s_and_saveexec_b64 s[4:5], s[70:71]
	s_cbranch_execz .LBB14_271
.LBB14_234:
	v_lshlrev_b32_e32 v6, 3, v56
	ds_read_b64 v[6:7], v6
	ds_read_u8 v13, v2 offset:5120
	s_waitcnt lgkmcnt(1)
	v_lshl_add_u64 v[6:7], s[98:99], 0, v[6:7]
	v_lshl_add_u64 v[6:7], v[6:7], 0, v[2:3]
	s_waitcnt lgkmcnt(0)
	global_store_byte v[6:7], v13, off offset:3072
	s_or_b64 exec, exec, s[4:5]
	s_and_saveexec_b64 s[4:5], s[72:73]
	s_cbranch_execnz .LBB14_272
.LBB14_235:
	s_or_b64 exec, exec, s[4:5]
	s_and_saveexec_b64 s[4:5], s[74:75]
	s_cbranch_execz .LBB14_273
.LBB14_236:
	v_lshlrev_b32_e32 v6, 3, v57
	ds_read_b64 v[6:7], v6
	ds_read_u8 v13, v2 offset:5632
	s_waitcnt lgkmcnt(1)
	v_lshl_add_u64 v[6:7], s[98:99], 0, v[6:7]
	v_lshl_add_u64 v[6:7], v[6:7], 0, v[2:3]
	s_waitcnt lgkmcnt(0)
	global_store_byte v[6:7], v13, off offset:3584
	s_or_b64 exec, exec, s[4:5]
	s_and_saveexec_b64 s[4:5], s[76:77]
	s_cbranch_execnz .LBB14_274
.LBB14_237:
	s_or_b64 exec, exec, s[4:5]
	s_and_saveexec_b64 s[4:5], s[78:79]
	s_cbranch_execz .LBB14_275
.LBB14_238:
	v_lshlrev_b32_e32 v3, 3, v55
	ds_read_b64 v[6:7], v3
	ds_read_u8 v3, v2 offset:6144
	v_mov_b32_e32 v13, 0
	s_waitcnt lgkmcnt(1)
	v_lshl_add_u64 v[6:7], s[98:99], 0, v[6:7]
	v_lshl_add_u64 v[6:7], v[6:7], 0, v[12:13]
	s_waitcnt lgkmcnt(0)
	global_store_byte v[6:7], v3, off
	s_or_b64 exec, exec, s[4:5]
	s_and_saveexec_b64 s[4:5], s[80:81]
	s_cbranch_execnz .LBB14_276
.LBB14_239:
	s_or_b64 exec, exec, s[4:5]
	s_and_saveexec_b64 s[4:5], s[82:83]
	s_cbranch_execz .LBB14_277
.LBB14_240:
	v_lshlrev_b32_e32 v3, 3, v26
	ds_read_b64 v[6:7], v3
	ds_read_u8 v3, v2 offset:6656
	v_mov_b32_e32 v17, 0
	s_waitcnt lgkmcnt(1)
	v_lshl_add_u64 v[6:7], s[98:99], 0, v[6:7]
	v_lshl_add_u64 v[6:7], v[6:7], 0, v[16:17]
	s_waitcnt lgkmcnt(0)
	global_store_byte v[6:7], v3, off
	s_or_b64 exec, exec, s[4:5]
	s_and_saveexec_b64 s[4:5], s[84:85]
	s_cbranch_execnz .LBB14_278
.LBB14_241:
	s_or_b64 exec, exec, s[4:5]
	s_and_saveexec_b64 s[4:5], s[86:87]
	s_cbranch_execz .LBB14_279
.LBB14_242:
	v_lshlrev_b32_e32 v3, 3, v25
	ds_read_b64 v[6:7], v3
	ds_read_u8 v3, v2 offset:7168
	v_mov_b32_e32 v21, 0
	s_waitcnt lgkmcnt(1)
	v_lshl_add_u64 v[6:7], s[98:99], 0, v[6:7]
	v_lshl_add_u64 v[6:7], v[6:7], 0, v[20:21]
	s_waitcnt lgkmcnt(0)
	global_store_byte v[6:7], v3, off
	s_or_b64 exec, exec, s[4:5]
	s_and_saveexec_b64 s[4:5], s[88:89]
	s_cbranch_execnz .LBB14_280
	s_branch .LBB14_281
.LBB14_243:
	s_or_b64 exec, exec, s[4:5]
                                        ; implicit-def: $vgpr64
	s_and_saveexec_b64 s[4:5], s[14:15]
	s_cbranch_execz .LBB14_161
.LBB14_244:
	global_load_ubyte v64, v[4:5], off offset:384
	s_or_b64 exec, exec, s[4:5]
                                        ; implicit-def: $vgpr65
	s_and_saveexec_b64 s[4:5], s[16:17]
	s_cbranch_execnz .LBB14_162
.LBB14_245:
	s_or_b64 exec, exec, s[4:5]
                                        ; implicit-def: $vgpr66
	s_and_saveexec_b64 s[4:5], s[18:19]
	s_cbranch_execz .LBB14_163
.LBB14_246:
	global_load_ubyte v66, v[4:5], off offset:512
	s_or_b64 exec, exec, s[4:5]
                                        ; implicit-def: $vgpr67
	s_and_saveexec_b64 s[4:5], s[20:21]
	s_cbranch_execnz .LBB14_164
.LBB14_247:
	s_or_b64 exec, exec, s[4:5]
                                        ; implicit-def: $vgpr68
	s_and_saveexec_b64 s[4:5], s[22:23]
	s_cbranch_execz .LBB14_165
.LBB14_248:
	global_load_ubyte v68, v[4:5], off offset:640
	s_or_b64 exec, exec, s[4:5]
                                        ; implicit-def: $vgpr69
	s_and_saveexec_b64 s[4:5], s[24:25]
	s_cbranch_execnz .LBB14_166
.LBB14_249:
	s_or_b64 exec, exec, s[4:5]
                                        ; implicit-def: $vgpr70
	s_and_saveexec_b64 s[4:5], s[26:27]
	s_cbranch_execz .LBB14_167
.LBB14_250:
	global_load_ubyte v70, v[4:5], off offset:768
	s_or_b64 exec, exec, s[4:5]
                                        ; implicit-def: $vgpr71
	s_and_saveexec_b64 s[4:5], s[28:29]
	s_cbranch_execnz .LBB14_168
.LBB14_251:
	s_or_b64 exec, exec, s[4:5]
                                        ; implicit-def: $vgpr72
	s_and_saveexec_b64 s[4:5], s[30:31]
	s_cbranch_execz .LBB14_169
.LBB14_252:
	global_load_ubyte v72, v[4:5], off offset:896
	s_or_b64 exec, exec, s[4:5]
                                        ; implicit-def: $vgpr73
	s_and_saveexec_b64 s[4:5], s[34:35]
	s_cbranch_execnz .LBB14_170
.LBB14_253:
	s_or_b64 exec, exec, s[4:5]
                                        ; implicit-def: $vgpr74
	s_and_saveexec_b64 s[4:5], s[36:37]
	s_cbranch_execz .LBB14_171
.LBB14_254:
	global_load_ubyte v74, v[4:5], off offset:1024
	s_or_b64 exec, exec, s[4:5]
                                        ; implicit-def: $vgpr75
	s_and_saveexec_b64 s[4:5], s[38:39]
	s_cbranch_execnz .LBB14_172
.LBB14_255:
	s_or_b64 exec, exec, s[4:5]
                                        ; implicit-def: $vgpr76
	s_and_saveexec_b64 s[4:5], s[40:41]
	s_cbranch_execz .LBB14_173
.LBB14_256:
	global_load_ubyte v76, v[4:5], off offset:1152
	s_or_b64 exec, exec, s[4:5]
                                        ; implicit-def: $vgpr77
	s_and_saveexec_b64 s[4:5], s[42:43]
	s_cbranch_execnz .LBB14_174
.LBB14_257:
	s_or_b64 exec, exec, s[4:5]
                                        ; implicit-def: $vgpr78
	s_and_saveexec_b64 s[4:5], s[44:45]
	s_cbranch_execz .LBB14_175
.LBB14_258:
	global_load_ubyte v78, v[4:5], off offset:1280
	s_or_b64 exec, exec, s[4:5]
                                        ; implicit-def: $vgpr79
	s_and_saveexec_b64 s[4:5], s[46:47]
	s_cbranch_execnz .LBB14_176
	s_branch .LBB14_177
.LBB14_259:
	s_or_b64 exec, exec, s[4:5]
	s_and_saveexec_b64 s[4:5], s[48:49]
	s_cbranch_execz .LBB14_223
.LBB14_260:
	v_lshlrev_b32_e32 v6, 3, v6
	ds_read_b64 v[34:35], v6
	ds_read_u8 v6, v2 offset:2304
	s_waitcnt lgkmcnt(1)
	v_lshl_add_u64 v[34:35], s[98:99], 0, v[34:35]
	v_lshl_add_u64 v[34:35], v[34:35], 0, v[2:3]
	s_waitcnt lgkmcnt(0)
	global_store_byte v[34:35], v6, off offset:256
	s_or_b64 exec, exec, s[4:5]
	s_and_saveexec_b64 s[4:5], s[50:51]
	s_cbranch_execnz .LBB14_224
.LBB14_261:
	s_or_b64 exec, exec, s[4:5]
	s_and_saveexec_b64 s[4:5], s[52:53]
	s_cbranch_execz .LBB14_225
.LBB14_262:
	v_lshlrev_b32_e32 v6, 3, v7
	ds_read_b64 v[6:7], v6
	ds_read_u8 v27, v2 offset:2816
	s_waitcnt lgkmcnt(1)
	v_lshl_add_u64 v[6:7], s[98:99], 0, v[6:7]
	v_lshl_add_u64 v[6:7], v[6:7], 0, v[2:3]
	s_waitcnt lgkmcnt(0)
	global_store_byte v[6:7], v27, off offset:768
	s_or_b64 exec, exec, s[4:5]
	s_and_saveexec_b64 s[4:5], s[54:55]
	s_cbranch_execnz .LBB14_226
.LBB14_263:
	s_or_b64 exec, exec, s[4:5]
	s_and_saveexec_b64 s[4:5], s[56:57]
	s_cbranch_execz .LBB14_227
.LBB14_264:
	v_lshlrev_b32_e32 v6, 3, v13
	ds_read_b64 v[6:7], v6
	ds_read_u8 v13, v2 offset:3328
	s_waitcnt lgkmcnt(1)
	v_lshl_add_u64 v[6:7], s[98:99], 0, v[6:7]
	v_lshl_add_u64 v[6:7], v[6:7], 0, v[2:3]
	s_waitcnt lgkmcnt(0)
	global_store_byte v[6:7], v13, off offset:1280
	s_or_b64 exec, exec, s[4:5]
	s_and_saveexec_b64 s[4:5], s[58:59]
	s_cbranch_execnz .LBB14_228
.LBB14_265:
	s_or_b64 exec, exec, s[4:5]
	s_and_saveexec_b64 s[4:5], s[60:61]
	s_cbranch_execz .LBB14_229
.LBB14_266:
	v_lshlrev_b32_e32 v6, 3, v17
	ds_read_b64 v[6:7], v6
	ds_read_u8 v13, v2 offset:3840
	s_waitcnt lgkmcnt(1)
	v_lshl_add_u64 v[6:7], s[98:99], 0, v[6:7]
	v_lshl_add_u64 v[6:7], v[6:7], 0, v[2:3]
	s_waitcnt lgkmcnt(0)
	global_store_byte v[6:7], v13, off offset:1792
	s_or_b64 exec, exec, s[4:5]
	s_and_saveexec_b64 s[4:5], s[62:63]
	s_cbranch_execnz .LBB14_230
.LBB14_267:
	s_or_b64 exec, exec, s[4:5]
	s_and_saveexec_b64 s[4:5], s[64:65]
	s_cbranch_execz .LBB14_231
.LBB14_268:
	v_lshlrev_b32_e32 v6, 3, v19
	ds_read_b64 v[6:7], v6
	ds_read_u8 v13, v2 offset:4352
	s_waitcnt lgkmcnt(1)
	v_lshl_add_u64 v[6:7], s[98:99], 0, v[6:7]
	v_lshl_add_u64 v[6:7], v[6:7], 0, v[2:3]
	s_waitcnt lgkmcnt(0)
	global_store_byte v[6:7], v13, off offset:2304
	s_or_b64 exec, exec, s[4:5]
	s_and_saveexec_b64 s[4:5], s[66:67]
	s_cbranch_execnz .LBB14_232
.LBB14_269:
	s_or_b64 exec, exec, s[4:5]
	s_and_saveexec_b64 s[4:5], s[68:69]
	s_cbranch_execz .LBB14_233
.LBB14_270:
	v_lshlrev_b32_e32 v6, 3, v21
	ds_read_b64 v[6:7], v6
	ds_read_u8 v13, v2 offset:4864
	s_waitcnt lgkmcnt(1)
	v_lshl_add_u64 v[6:7], s[98:99], 0, v[6:7]
	v_lshl_add_u64 v[6:7], v[6:7], 0, v[2:3]
	s_waitcnt lgkmcnt(0)
	global_store_byte v[6:7], v13, off offset:2816
	s_or_b64 exec, exec, s[4:5]
	s_and_saveexec_b64 s[4:5], s[70:71]
	s_cbranch_execnz .LBB14_234
.LBB14_271:
	s_or_b64 exec, exec, s[4:5]
	s_and_saveexec_b64 s[4:5], s[72:73]
	s_cbranch_execz .LBB14_235
.LBB14_272:
	v_lshlrev_b32_e32 v6, 3, v23
	ds_read_b64 v[6:7], v6
	ds_read_u8 v13, v2 offset:5376
	s_waitcnt lgkmcnt(1)
	v_lshl_add_u64 v[6:7], s[98:99], 0, v[6:7]
	v_lshl_add_u64 v[6:7], v[6:7], 0, v[2:3]
	s_waitcnt lgkmcnt(0)
	global_store_byte v[6:7], v13, off offset:3328
	s_or_b64 exec, exec, s[4:5]
	s_and_saveexec_b64 s[4:5], s[74:75]
	s_cbranch_execnz .LBB14_236
.LBB14_273:
	s_or_b64 exec, exec, s[4:5]
	s_and_saveexec_b64 s[4:5], s[76:77]
	s_cbranch_execz .LBB14_237
.LBB14_274:
	v_lshlrev_b32_e32 v6, 3, v24
	ds_read_b64 v[6:7], v6
	ds_read_u8 v13, v2 offset:5888
	s_waitcnt lgkmcnt(1)
	v_lshl_add_u64 v[6:7], s[98:99], 0, v[6:7]
	v_lshl_add_u64 v[6:7], v[6:7], 0, v[2:3]
	s_waitcnt lgkmcnt(0)
	global_store_byte v[6:7], v13, off offset:3840
	s_or_b64 exec, exec, s[4:5]
	s_and_saveexec_b64 s[4:5], s[78:79]
	s_cbranch_execnz .LBB14_238
.LBB14_275:
	s_or_b64 exec, exec, s[4:5]
	s_and_saveexec_b64 s[4:5], s[80:81]
	s_cbranch_execz .LBB14_239
.LBB14_276:
	v_lshlrev_b32_e32 v3, 3, v15
	ds_read_b64 v[6:7], v3
	ds_read_u8 v3, v2 offset:6400
	v_mov_b32_e32 v15, 0
	s_waitcnt lgkmcnt(1)
	v_lshl_add_u64 v[6:7], s[98:99], 0, v[6:7]
	v_lshl_add_u64 v[6:7], v[6:7], 0, v[14:15]
	s_waitcnt lgkmcnt(0)
	global_store_byte v[6:7], v3, off
	s_or_b64 exec, exec, s[4:5]
	s_and_saveexec_b64 s[4:5], s[82:83]
	s_cbranch_execnz .LBB14_240
.LBB14_277:
	s_or_b64 exec, exec, s[4:5]
	s_and_saveexec_b64 s[4:5], s[84:85]
	s_cbranch_execz .LBB14_241
.LBB14_278:
	v_lshlrev_b32_e32 v3, 3, v5
	ds_read_b64 v[6:7], v3
	ds_read_u8 v3, v2 offset:6912
	v_mov_b32_e32 v19, 0
	s_waitcnt lgkmcnt(1)
	v_lshl_add_u64 v[6:7], s[98:99], 0, v[6:7]
	v_lshl_add_u64 v[6:7], v[6:7], 0, v[18:19]
	s_waitcnt lgkmcnt(0)
	global_store_byte v[6:7], v3, off
	s_or_b64 exec, exec, s[4:5]
	s_and_saveexec_b64 s[4:5], s[86:87]
	s_cbranch_execnz .LBB14_242
.LBB14_279:
	s_or_b64 exec, exec, s[4:5]
	s_and_saveexec_b64 s[4:5], s[88:89]
	s_cbranch_execz .LBB14_281
.LBB14_280:
	v_lshlrev_b32_e32 v3, 3, v4
	ds_read_b64 v[4:5], v3
	ds_read_u8 v3, v2 offset:7424
	v_mov_b32_e32 v23, 0
	s_waitcnt lgkmcnt(1)
	v_lshl_add_u64 v[4:5], s[98:99], 0, v[4:5]
	v_lshl_add_u64 v[4:5], v[4:5], 0, v[22:23]
	s_waitcnt lgkmcnt(0)
	global_store_byte v[4:5], v3, off
.LBB14_281:
	s_or_b64 exec, exec, s[4:5]
	s_load_dword s4, s[0:1], 0x50
	s_waitcnt lgkmcnt(0)
	s_add_i32 s4, s4, -1
	s_cmp_eq_u32 s2, s4
	s_cbranch_scc0 .LBB14_283
; %bb.282:
	ds_read_b64 v[4:5], v11
	s_load_dwordx4 s[12:15], s[0:1], 0x28
	v_mov_b32_e32 v11, 0
	v_lshl_add_u64 v[6:7], v[10:11], 0, v[8:9]
	v_lshlrev_b32_e32 v8, 3, v2
	s_waitcnt lgkmcnt(0)
	v_lshl_add_u64 v[2:3], v[6:7], 0, v[4:5]
	global_store_dwordx2 v8, v[2:3], s[14:15]
.LBB14_283:
	s_mov_b64 s[4:5], 0
.LBB14_284:
	s_and_b64 vcc, exec, s[4:5]
	s_cbranch_vccz .LBB14_347
; %bb.285:
	s_mov_b32 s7, 0
	s_lshl_b64 s[4:5], s[6:7], 2
	s_add_u32 s4, s92, s4
	v_mbcnt_hi_u32_b32 v4, -1, v1
	v_mov_b32_e32 v5, 0
	s_addc_u32 s5, s93, s5
	v_lshlrev_b32_e32 v2, 2, v4
	v_mov_b32_e32 v3, v5
	v_lshl_add_u64 v[2:3], s[4:5], 0, v[2:3]
	s_load_dword s7, s[0:1], 0x50
	s_load_dword s4, s[0:1], 0x5c
	v_and_b32_e32 v7, 0xc0, v0
	v_mul_u32_u24_e32 v6, 22, v7
	v_lshlrev_b32_e32 v8, 2, v6
	v_mov_b32_e32 v9, v5
	s_add_u32 s0, s0, 0x50
	v_lshl_add_u64 v[10:11], v[2:3], 0, v[8:9]
	s_addc_u32 s1, s1, 0
	s_waitcnt lgkmcnt(0)
	s_lshr_b32 s4, s4, 16
	global_load_dword v13, v[10:11], off
	s_cmp_lt_u32 s2, s7
	s_cselect_b32 s5, 12, 18
	s_add_u32 s0, s0, s5
	s_addc_u32 s1, s1, 0
	global_load_ushort v18, v5, s[0:1]
	v_and_b32_e32 v2, 0x3ff, v0
	v_mul_u32_u24_e32 v3, 20, v2
	ds_write2_b32 v3, v5, v5 offset0:4 offset1:5
	ds_write2_b32 v3, v5, v5 offset0:6 offset1:7
	ds_write_b32 v3, v5 offset:32
	global_load_dword v9, v[10:11], off offset:256
	global_load_dword v8, v[10:11], off offset:512
	global_load_dword v22, v[10:11], off offset:768
	global_load_dword v27, v[10:11], off offset:1024
	global_load_dword v32, v[10:11], off offset:1280
	global_load_dword v37, v[10:11], off offset:1536
	global_load_dword v42, v[10:11], off offset:1792
	global_load_dword v47, v[10:11], off offset:2048
	global_load_dword v52, v[10:11], off offset:2304
	global_load_dword v57, v[10:11], off offset:2560
	global_load_dword v62, v[10:11], off offset:2816
	global_load_dword v65, v[10:11], off offset:3072
	global_load_dword v60, v[10:11], off offset:3328
	global_load_dword v55, v[10:11], off offset:3584
	global_load_dword v50, v[10:11], off offset:3840
	s_movk_i32 s0, 0x1000
	v_add_co_u32_e32 v16, vcc, s0, v10
	v_bfe_u32 v15, v0, 10, 10
	s_nop 0
	v_addc_co_u32_e32 v17, vcc, 0, v11, vcc
	global_load_dword v45, v[16:17], off
	global_load_dword v41, v[16:17], off offset:256
	global_load_dword v36, v[16:17], off offset:512
	;; [unrolled: 1-line block ×5, first 2 shown]
	v_bfe_u32 v0, v0, 20, 10
	v_mad_u32_u24 v19, v0, s4, v15
	s_lshl_b32 s0, -1, s9
	v_mov_b32_e32 v1, v5
	v_mov_b32_e32 v12, v5
	;; [unrolled: 1-line block ×3, first 2 shown]
	s_not_b32 s9, s0
	s_waitcnt lgkmcnt(0)
	s_barrier
	s_waitcnt vmcnt(22)
	; wave barrier
	v_xor_b32_e32 v11, 0x7fffffff, v13
	v_lshrrev_b32_e32 v0, s8, v11
	v_bitop3_b32 v20, v0, s0, v0 bitop3:0x30
	v_and_b32_e32 v0, 1, v20
	v_lshlrev_b32_e32 v13, 30, v20
	v_lshlrev_b32_e32 v15, 29, v20
	s_waitcnt vmcnt(21)
	v_mad_u64_u32 v[16:17], s[0:1], v19, v18, v[2:3]
	v_lshl_add_u64 v[18:19], v[0:1], 0, -1
	v_cmp_ne_u32_e32 vcc, 0, v0
	v_not_b32_e32 v0, v13
	v_cmp_gt_i64_e64 s[0:1], 0, v[12:13]
	v_cmp_gt_i64_e64 s[4:5], 0, v[14:15]
	v_not_b32_e32 v1, v15
	v_xor_b32_e32 v13, vcc_hi, v19
	v_xor_b32_e32 v14, vcc_lo, v18
	v_ashrrev_i32_e32 v0, 31, v0
	v_ashrrev_i32_e32 v1, 31, v1
	v_and_b32_e32 v13, exec_hi, v13
	v_and_b32_e32 v14, exec_lo, v14
	v_xor_b32_e32 v15, s1, v0
	v_xor_b32_e32 v0, s0, v0
	v_and_b32_e32 v13, v13, v15
	v_and_b32_e32 v0, v14, v0
	v_xor_b32_e32 v14, s5, v1
	v_xor_b32_e32 v1, s4, v1
	v_and_b32_e32 v13, v13, v14
	v_and_b32_e32 v14, v0, v1
	v_lshlrev_b32_e32 v1, 28, v20
	v_mov_b32_e32 v0, v5
	v_cmp_gt_i64_e32 vcc, 0, v[0:1]
	v_not_b32_e32 v0, v1
	v_ashrrev_i32_e32 v0, 31, v0
	v_xor_b32_e32 v1, vcc_hi, v0
	v_xor_b32_e32 v0, vcc_lo, v0
	v_and_b32_e32 v13, v13, v1
	v_and_b32_e32 v14, v14, v0
	v_lshlrev_b32_e32 v1, 27, v20
	v_mov_b32_e32 v0, v5
	v_cmp_gt_i64_e32 vcc, 0, v[0:1]
	v_not_b32_e32 v0, v1
	v_ashrrev_i32_e32 v0, 31, v0
	v_xor_b32_e32 v1, vcc_hi, v0
	v_xor_b32_e32 v0, vcc_lo, v0
	;; [unrolled: 9-line block ×5, first 2 shown]
	v_and_b32_e32 v0, v14, v0
	v_and_b32_e32 v1, v13, v1
	v_mbcnt_lo_u32_b32 v13, v0, 0
	v_mbcnt_hi_u32_b32 v14, v1, v13
	v_mul_lo_u32 v23, v20, 20
	v_lshrrev_b32_e32 v21, 6, v16
	v_cmp_eq_u32_e32 vcc, 0, v14
	v_cmp_ne_u64_e64 s[0:1], 0, v[0:1]
	v_lshl_add_u32 v12, v21, 2, v23
	s_and_b64 s[4:5], s[0:1], vcc
	s_and_saveexec_b64 s[0:1], s[4:5]
; %bb.286:
	v_bcnt_u32_b32 v0, v0, 0
	v_bcnt_u32_b32 v0, v1, v0
	ds_write_b32 v12, v0 offset:16
; %bb.287:
	s_or_b64 exec, exec, s[0:1]
	s_waitcnt vmcnt(20)
	v_xor_b32_e32 v13, 0x7fffffff, v9
	v_lshrrev_b32_e32 v0, s8, v13
	v_and_b32_e32 v9, s9, v0
	v_mul_lo_u32 v0, v9, 20
	v_lshl_add_u32 v16, v21, 2, v0
	v_and_b32_e32 v0, 1, v9
	v_mov_b32_e32 v1, v5
	v_lshl_add_u64 v[18:19], v[0:1], 0, -1
	v_cmp_ne_u32_e32 vcc, 0, v0
	; wave barrier
	s_nop 1
	v_xor_b32_e32 v0, vcc_hi, v19
	v_xor_b32_e32 v1, vcc_lo, v18
	v_and_b32_e32 v17, exec_hi, v0
	v_and_b32_e32 v18, exec_lo, v1
	v_lshlrev_b32_e32 v1, 30, v9
	v_mov_b32_e32 v0, v5
	v_cmp_gt_i64_e32 vcc, 0, v[0:1]
	v_not_b32_e32 v0, v1
	v_ashrrev_i32_e32 v0, 31, v0
	v_xor_b32_e32 v1, vcc_hi, v0
	v_xor_b32_e32 v0, vcc_lo, v0
	v_and_b32_e32 v17, v17, v1
	v_and_b32_e32 v18, v18, v0
	v_lshlrev_b32_e32 v1, 29, v9
	v_mov_b32_e32 v0, v5
	v_cmp_gt_i64_e32 vcc, 0, v[0:1]
	v_not_b32_e32 v0, v1
	v_ashrrev_i32_e32 v0, 31, v0
	v_xor_b32_e32 v1, vcc_hi, v0
	v_xor_b32_e32 v0, vcc_lo, v0
	v_and_b32_e32 v17, v17, v1
	v_and_b32_e32 v18, v18, v0
	;; [unrolled: 9-line block ×6, first 2 shown]
	v_lshlrev_b32_e32 v1, 24, v9
	v_mov_b32_e32 v0, v5
	v_cmp_gt_i64_e32 vcc, 0, v[0:1]
	v_not_b32_e32 v0, v1
	v_ashrrev_i32_e32 v0, 31, v0
	v_xor_b32_e32 v1, vcc_hi, v0
	v_xor_b32_e32 v0, vcc_lo, v0
	ds_read_b32 v15, v16 offset:16
	v_and_b32_e32 v0, v18, v0
	v_and_b32_e32 v1, v17, v1
	v_mbcnt_lo_u32_b32 v9, v0, 0
	v_mbcnt_hi_u32_b32 v18, v1, v9
	v_cmp_eq_u32_e32 vcc, 0, v18
	v_cmp_ne_u64_e64 s[0:1], 0, v[0:1]
	s_and_b64 s[4:5], s[0:1], vcc
	; wave barrier
	s_and_saveexec_b64 s[0:1], s[4:5]
	s_cbranch_execz .LBB14_289
; %bb.288:
	v_bcnt_u32_b32 v0, v0, 0
	v_bcnt_u32_b32 v0, v1, v0
	s_waitcnt lgkmcnt(0)
	v_add_u32_e32 v0, v15, v0
	ds_write_b32 v16, v0 offset:16
.LBB14_289:
	s_or_b64 exec, exec, s[0:1]
	s_waitcnt vmcnt(19)
	v_xor_b32_e32 v17, 0x7fffffff, v8
	v_lshrrev_b32_e32 v0, s8, v17
	v_and_b32_e32 v23, s9, v0
	v_mul_lo_u32 v0, v23, 20
	v_lshl_add_u32 v20, v21, 2, v0
	v_and_b32_e32 v0, 1, v23
	v_mov_b32_e32 v1, 0
	v_lshl_add_u64 v[8:9], v[0:1], 0, -1
	v_cmp_ne_u32_e32 vcc, 0, v0
	; wave barrier
	s_nop 1
	v_xor_b32_e32 v8, vcc_lo, v8
	v_xor_b32_e32 v0, vcc_hi, v9
	v_and_b32_e32 v24, exec_lo, v8
	v_lshlrev_b32_e32 v9, 30, v23
	v_mov_b32_e32 v8, v1
	v_cmp_gt_i64_e32 vcc, 0, v[8:9]
	v_not_b32_e32 v8, v9
	v_ashrrev_i32_e32 v8, 31, v8
	v_and_b32_e32 v0, exec_hi, v0
	v_xor_b32_e32 v9, vcc_hi, v8
	v_xor_b32_e32 v8, vcc_lo, v8
	v_and_b32_e32 v0, v0, v9
	v_and_b32_e32 v24, v24, v8
	v_lshlrev_b32_e32 v9, 29, v23
	v_mov_b32_e32 v8, v1
	v_cmp_gt_i64_e32 vcc, 0, v[8:9]
	v_not_b32_e32 v8, v9
	v_ashrrev_i32_e32 v8, 31, v8
	v_xor_b32_e32 v9, vcc_hi, v8
	v_xor_b32_e32 v8, vcc_lo, v8
	v_and_b32_e32 v0, v0, v9
	v_and_b32_e32 v24, v24, v8
	v_lshlrev_b32_e32 v9, 28, v23
	v_mov_b32_e32 v8, v1
	v_cmp_gt_i64_e32 vcc, 0, v[8:9]
	v_not_b32_e32 v8, v9
	v_ashrrev_i32_e32 v8, 31, v8
	;; [unrolled: 9-line block ×6, first 2 shown]
	v_xor_b32_e32 v9, vcc_hi, v8
	v_xor_b32_e32 v8, vcc_lo, v8
	ds_read_b32 v19, v20 offset:16
	v_and_b32_e32 v8, v24, v8
	v_and_b32_e32 v9, v0, v9
	v_mbcnt_lo_u32_b32 v0, v8, 0
	v_mbcnt_hi_u32_b32 v23, v9, v0
	v_cmp_eq_u32_e32 vcc, 0, v23
	v_cmp_ne_u64_e64 s[0:1], 0, v[8:9]
	s_and_b64 s[4:5], s[0:1], vcc
	; wave barrier
	s_and_saveexec_b64 s[0:1], s[4:5]
	s_cbranch_execz .LBB14_291
; %bb.290:
	v_bcnt_u32_b32 v0, v8, 0
	v_bcnt_u32_b32 v0, v9, v0
	s_waitcnt lgkmcnt(0)
	v_add_u32_e32 v0, v19, v0
	ds_write_b32 v20, v0 offset:16
.LBB14_291:
	s_or_b64 exec, exec, s[0:1]
	s_waitcnt vmcnt(18)
	v_xor_b32_e32 v22, 0x7fffffff, v22
	v_lshrrev_b32_e32 v0, s8, v22
	v_and_b32_e32 v28, s9, v0
	v_mul_lo_u32 v0, v28, 20
	v_lshl_add_u32 v25, v21, 2, v0
	v_and_b32_e32 v0, 1, v28
	v_lshl_add_u64 v[8:9], v[0:1], 0, -1
	v_cmp_ne_u32_e32 vcc, 0, v0
	; wave barrier
	s_nop 1
	v_xor_b32_e32 v8, vcc_lo, v8
	v_xor_b32_e32 v0, vcc_hi, v9
	v_and_b32_e32 v29, exec_lo, v8
	v_lshlrev_b32_e32 v9, 30, v28
	v_mov_b32_e32 v8, v1
	v_cmp_gt_i64_e32 vcc, 0, v[8:9]
	v_not_b32_e32 v8, v9
	v_ashrrev_i32_e32 v8, 31, v8
	v_and_b32_e32 v0, exec_hi, v0
	v_xor_b32_e32 v9, vcc_hi, v8
	v_xor_b32_e32 v8, vcc_lo, v8
	v_and_b32_e32 v0, v0, v9
	v_and_b32_e32 v29, v29, v8
	v_lshlrev_b32_e32 v9, 29, v28
	v_mov_b32_e32 v8, v1
	v_cmp_gt_i64_e32 vcc, 0, v[8:9]
	v_not_b32_e32 v8, v9
	v_ashrrev_i32_e32 v8, 31, v8
	v_xor_b32_e32 v9, vcc_hi, v8
	v_xor_b32_e32 v8, vcc_lo, v8
	v_and_b32_e32 v0, v0, v9
	v_and_b32_e32 v29, v29, v8
	v_lshlrev_b32_e32 v9, 28, v28
	v_mov_b32_e32 v8, v1
	v_cmp_gt_i64_e32 vcc, 0, v[8:9]
	v_not_b32_e32 v8, v9
	v_ashrrev_i32_e32 v8, 31, v8
	;; [unrolled: 9-line block ×5, first 2 shown]
	v_xor_b32_e32 v9, vcc_hi, v8
	v_xor_b32_e32 v8, vcc_lo, v8
	v_and_b32_e32 v0, v0, v9
	v_lshlrev_b32_e32 v9, 24, v28
	v_and_b32_e32 v29, v29, v8
	v_mov_b32_e32 v8, v1
	v_not_b32_e32 v1, v9
	v_cmp_gt_i64_e32 vcc, 0, v[8:9]
	v_ashrrev_i32_e32 v1, 31, v1
	ds_read_b32 v24, v25 offset:16
	v_xor_b32_e32 v8, vcc_hi, v1
	v_xor_b32_e32 v9, vcc_lo, v1
	v_and_b32_e32 v1, v0, v8
	v_and_b32_e32 v0, v29, v9
	v_mbcnt_lo_u32_b32 v8, v0, 0
	v_mbcnt_hi_u32_b32 v28, v1, v8
	v_cmp_eq_u32_e32 vcc, 0, v28
	v_cmp_ne_u64_e64 s[0:1], 0, v[0:1]
	s_and_b64 s[4:5], s[0:1], vcc
	; wave barrier
	s_and_saveexec_b64 s[0:1], s[4:5]
	s_cbranch_execz .LBB14_293
; %bb.292:
	v_bcnt_u32_b32 v0, v0, 0
	v_bcnt_u32_b32 v0, v1, v0
	s_waitcnt lgkmcnt(0)
	v_add_u32_e32 v0, v24, v0
	ds_write_b32 v25, v0 offset:16
.LBB14_293:
	s_or_b64 exec, exec, s[0:1]
	s_waitcnt vmcnt(17)
	v_xor_b32_e32 v27, 0x7fffffff, v27
	v_lshrrev_b32_e32 v0, s8, v27
	v_and_b32_e32 v33, s9, v0
	v_mul_lo_u32 v0, v33, 20
	v_lshl_add_u32 v30, v21, 2, v0
	v_and_b32_e32 v0, 1, v33
	v_mov_b32_e32 v1, 0
	v_lshl_add_u64 v[8:9], v[0:1], 0, -1
	v_cmp_ne_u32_e32 vcc, 0, v0
	; wave barrier
	s_nop 1
	v_xor_b32_e32 v8, vcc_lo, v8
	v_xor_b32_e32 v0, vcc_hi, v9
	v_and_b32_e32 v34, exec_lo, v8
	v_lshlrev_b32_e32 v9, 30, v33
	v_mov_b32_e32 v8, v1
	v_cmp_gt_i64_e32 vcc, 0, v[8:9]
	v_not_b32_e32 v8, v9
	v_ashrrev_i32_e32 v8, 31, v8
	v_and_b32_e32 v0, exec_hi, v0
	v_xor_b32_e32 v9, vcc_hi, v8
	v_xor_b32_e32 v8, vcc_lo, v8
	v_and_b32_e32 v0, v0, v9
	v_and_b32_e32 v34, v34, v8
	v_lshlrev_b32_e32 v9, 29, v33
	v_mov_b32_e32 v8, v1
	v_cmp_gt_i64_e32 vcc, 0, v[8:9]
	v_not_b32_e32 v8, v9
	v_ashrrev_i32_e32 v8, 31, v8
	v_xor_b32_e32 v9, vcc_hi, v8
	v_xor_b32_e32 v8, vcc_lo, v8
	v_and_b32_e32 v0, v0, v9
	v_and_b32_e32 v34, v34, v8
	v_lshlrev_b32_e32 v9, 28, v33
	v_mov_b32_e32 v8, v1
	v_cmp_gt_i64_e32 vcc, 0, v[8:9]
	v_not_b32_e32 v8, v9
	v_ashrrev_i32_e32 v8, 31, v8
	;; [unrolled: 9-line block ×6, first 2 shown]
	v_xor_b32_e32 v9, vcc_hi, v8
	v_xor_b32_e32 v8, vcc_lo, v8
	ds_read_b32 v29, v30 offset:16
	v_and_b32_e32 v8, v34, v8
	v_and_b32_e32 v9, v0, v9
	v_mbcnt_lo_u32_b32 v0, v8, 0
	v_mbcnt_hi_u32_b32 v33, v9, v0
	v_cmp_eq_u32_e32 vcc, 0, v33
	v_cmp_ne_u64_e64 s[0:1], 0, v[8:9]
	s_and_b64 s[4:5], s[0:1], vcc
	; wave barrier
	s_and_saveexec_b64 s[0:1], s[4:5]
	s_cbranch_execz .LBB14_295
; %bb.294:
	v_bcnt_u32_b32 v0, v8, 0
	v_bcnt_u32_b32 v0, v9, v0
	s_waitcnt lgkmcnt(0)
	v_add_u32_e32 v0, v29, v0
	ds_write_b32 v30, v0 offset:16
.LBB14_295:
	s_or_b64 exec, exec, s[0:1]
	s_waitcnt vmcnt(16)
	v_xor_b32_e32 v32, 0x7fffffff, v32
	v_lshrrev_b32_e32 v0, s8, v32
	v_and_b32_e32 v38, s9, v0
	v_mul_lo_u32 v0, v38, 20
	v_lshl_add_u32 v35, v21, 2, v0
	v_and_b32_e32 v0, 1, v38
	v_lshl_add_u64 v[8:9], v[0:1], 0, -1
	v_cmp_ne_u32_e32 vcc, 0, v0
	; wave barrier
	s_nop 1
	v_xor_b32_e32 v8, vcc_lo, v8
	v_xor_b32_e32 v0, vcc_hi, v9
	v_and_b32_e32 v39, exec_lo, v8
	v_lshlrev_b32_e32 v9, 30, v38
	v_mov_b32_e32 v8, v1
	v_cmp_gt_i64_e32 vcc, 0, v[8:9]
	v_not_b32_e32 v8, v9
	v_ashrrev_i32_e32 v8, 31, v8
	v_and_b32_e32 v0, exec_hi, v0
	v_xor_b32_e32 v9, vcc_hi, v8
	v_xor_b32_e32 v8, vcc_lo, v8
	v_and_b32_e32 v0, v0, v9
	v_and_b32_e32 v39, v39, v8
	v_lshlrev_b32_e32 v9, 29, v38
	v_mov_b32_e32 v8, v1
	v_cmp_gt_i64_e32 vcc, 0, v[8:9]
	v_not_b32_e32 v8, v9
	v_ashrrev_i32_e32 v8, 31, v8
	v_xor_b32_e32 v9, vcc_hi, v8
	v_xor_b32_e32 v8, vcc_lo, v8
	v_and_b32_e32 v0, v0, v9
	v_and_b32_e32 v39, v39, v8
	v_lshlrev_b32_e32 v9, 28, v38
	v_mov_b32_e32 v8, v1
	v_cmp_gt_i64_e32 vcc, 0, v[8:9]
	v_not_b32_e32 v8, v9
	v_ashrrev_i32_e32 v8, 31, v8
	;; [unrolled: 9-line block ×5, first 2 shown]
	v_xor_b32_e32 v9, vcc_hi, v8
	v_xor_b32_e32 v8, vcc_lo, v8
	v_and_b32_e32 v0, v0, v9
	v_lshlrev_b32_e32 v9, 24, v38
	v_and_b32_e32 v39, v39, v8
	v_mov_b32_e32 v8, v1
	v_not_b32_e32 v1, v9
	v_cmp_gt_i64_e32 vcc, 0, v[8:9]
	v_ashrrev_i32_e32 v1, 31, v1
	ds_read_b32 v34, v35 offset:16
	v_xor_b32_e32 v8, vcc_hi, v1
	v_xor_b32_e32 v9, vcc_lo, v1
	v_and_b32_e32 v1, v0, v8
	v_and_b32_e32 v0, v39, v9
	v_mbcnt_lo_u32_b32 v8, v0, 0
	v_mbcnt_hi_u32_b32 v38, v1, v8
	v_cmp_eq_u32_e32 vcc, 0, v38
	v_cmp_ne_u64_e64 s[0:1], 0, v[0:1]
	s_and_b64 s[4:5], s[0:1], vcc
	; wave barrier
	s_and_saveexec_b64 s[0:1], s[4:5]
	s_cbranch_execz .LBB14_297
; %bb.296:
	v_bcnt_u32_b32 v0, v0, 0
	v_bcnt_u32_b32 v0, v1, v0
	s_waitcnt lgkmcnt(0)
	v_add_u32_e32 v0, v34, v0
	ds_write_b32 v35, v0 offset:16
.LBB14_297:
	s_or_b64 exec, exec, s[0:1]
	s_waitcnt vmcnt(15)
	v_xor_b32_e32 v37, 0x7fffffff, v37
	v_lshrrev_b32_e32 v0, s8, v37
	v_and_b32_e32 v43, s9, v0
	v_mul_lo_u32 v0, v43, 20
	v_lshl_add_u32 v40, v21, 2, v0
	v_and_b32_e32 v0, 1, v43
	v_mov_b32_e32 v1, 0
	v_lshl_add_u64 v[8:9], v[0:1], 0, -1
	v_cmp_ne_u32_e32 vcc, 0, v0
	; wave barrier
	s_nop 1
	v_xor_b32_e32 v8, vcc_lo, v8
	v_xor_b32_e32 v0, vcc_hi, v9
	v_and_b32_e32 v44, exec_lo, v8
	v_lshlrev_b32_e32 v9, 30, v43
	v_mov_b32_e32 v8, v1
	v_cmp_gt_i64_e32 vcc, 0, v[8:9]
	v_not_b32_e32 v8, v9
	v_ashrrev_i32_e32 v8, 31, v8
	v_and_b32_e32 v0, exec_hi, v0
	v_xor_b32_e32 v9, vcc_hi, v8
	v_xor_b32_e32 v8, vcc_lo, v8
	v_and_b32_e32 v0, v0, v9
	v_and_b32_e32 v44, v44, v8
	v_lshlrev_b32_e32 v9, 29, v43
	v_mov_b32_e32 v8, v1
	v_cmp_gt_i64_e32 vcc, 0, v[8:9]
	v_not_b32_e32 v8, v9
	v_ashrrev_i32_e32 v8, 31, v8
	v_xor_b32_e32 v9, vcc_hi, v8
	v_xor_b32_e32 v8, vcc_lo, v8
	v_and_b32_e32 v0, v0, v9
	v_and_b32_e32 v44, v44, v8
	v_lshlrev_b32_e32 v9, 28, v43
	v_mov_b32_e32 v8, v1
	v_cmp_gt_i64_e32 vcc, 0, v[8:9]
	v_not_b32_e32 v8, v9
	v_ashrrev_i32_e32 v8, 31, v8
	;; [unrolled: 9-line block ×6, first 2 shown]
	v_xor_b32_e32 v9, vcc_hi, v8
	v_xor_b32_e32 v8, vcc_lo, v8
	ds_read_b32 v39, v40 offset:16
	v_and_b32_e32 v8, v44, v8
	v_and_b32_e32 v9, v0, v9
	v_mbcnt_lo_u32_b32 v0, v8, 0
	v_mbcnt_hi_u32_b32 v43, v9, v0
	v_cmp_eq_u32_e32 vcc, 0, v43
	v_cmp_ne_u64_e64 s[0:1], 0, v[8:9]
	s_and_b64 s[4:5], s[0:1], vcc
	; wave barrier
	s_and_saveexec_b64 s[0:1], s[4:5]
	s_cbranch_execz .LBB14_299
; %bb.298:
	v_bcnt_u32_b32 v0, v8, 0
	v_bcnt_u32_b32 v0, v9, v0
	s_waitcnt lgkmcnt(0)
	v_add_u32_e32 v0, v39, v0
	ds_write_b32 v40, v0 offset:16
.LBB14_299:
	s_or_b64 exec, exec, s[0:1]
	s_waitcnt vmcnt(14)
	v_xor_b32_e32 v42, 0x7fffffff, v42
	v_lshrrev_b32_e32 v0, s8, v42
	v_and_b32_e32 v48, s9, v0
	v_mul_lo_u32 v0, v48, 20
	v_lshl_add_u32 v46, v21, 2, v0
	v_and_b32_e32 v0, 1, v48
	v_lshl_add_u64 v[8:9], v[0:1], 0, -1
	v_cmp_ne_u32_e32 vcc, 0, v0
	; wave barrier
	s_nop 1
	v_xor_b32_e32 v8, vcc_lo, v8
	v_xor_b32_e32 v0, vcc_hi, v9
	v_and_b32_e32 v49, exec_lo, v8
	v_lshlrev_b32_e32 v9, 30, v48
	v_mov_b32_e32 v8, v1
	v_cmp_gt_i64_e32 vcc, 0, v[8:9]
	v_not_b32_e32 v8, v9
	v_ashrrev_i32_e32 v8, 31, v8
	v_and_b32_e32 v0, exec_hi, v0
	v_xor_b32_e32 v9, vcc_hi, v8
	v_xor_b32_e32 v8, vcc_lo, v8
	v_and_b32_e32 v0, v0, v9
	v_and_b32_e32 v49, v49, v8
	v_lshlrev_b32_e32 v9, 29, v48
	v_mov_b32_e32 v8, v1
	v_cmp_gt_i64_e32 vcc, 0, v[8:9]
	v_not_b32_e32 v8, v9
	v_ashrrev_i32_e32 v8, 31, v8
	v_xor_b32_e32 v9, vcc_hi, v8
	v_xor_b32_e32 v8, vcc_lo, v8
	v_and_b32_e32 v0, v0, v9
	v_and_b32_e32 v49, v49, v8
	v_lshlrev_b32_e32 v9, 28, v48
	v_mov_b32_e32 v8, v1
	v_cmp_gt_i64_e32 vcc, 0, v[8:9]
	v_not_b32_e32 v8, v9
	v_ashrrev_i32_e32 v8, 31, v8
	;; [unrolled: 9-line block ×5, first 2 shown]
	v_xor_b32_e32 v9, vcc_hi, v8
	v_xor_b32_e32 v8, vcc_lo, v8
	v_and_b32_e32 v0, v0, v9
	v_lshlrev_b32_e32 v9, 24, v48
	v_and_b32_e32 v49, v49, v8
	v_mov_b32_e32 v8, v1
	v_not_b32_e32 v1, v9
	v_cmp_gt_i64_e32 vcc, 0, v[8:9]
	v_ashrrev_i32_e32 v1, 31, v1
	ds_read_b32 v44, v46 offset:16
	v_xor_b32_e32 v8, vcc_hi, v1
	v_xor_b32_e32 v9, vcc_lo, v1
	v_and_b32_e32 v1, v0, v8
	v_and_b32_e32 v0, v49, v9
	v_mbcnt_lo_u32_b32 v8, v0, 0
	v_mbcnt_hi_u32_b32 v48, v1, v8
	v_cmp_eq_u32_e32 vcc, 0, v48
	v_cmp_ne_u64_e64 s[0:1], 0, v[0:1]
	s_and_b64 s[4:5], s[0:1], vcc
	; wave barrier
	s_and_saveexec_b64 s[0:1], s[4:5]
	s_cbranch_execz .LBB14_301
; %bb.300:
	v_bcnt_u32_b32 v0, v0, 0
	v_bcnt_u32_b32 v0, v1, v0
	s_waitcnt lgkmcnt(0)
	v_add_u32_e32 v0, v44, v0
	ds_write_b32 v46, v0 offset:16
.LBB14_301:
	s_or_b64 exec, exec, s[0:1]
	s_waitcnt vmcnt(13)
	v_xor_b32_e32 v47, 0x7fffffff, v47
	v_lshrrev_b32_e32 v0, s8, v47
	v_and_b32_e32 v53, s9, v0
	v_mul_lo_u32 v0, v53, 20
	v_lshl_add_u32 v51, v21, 2, v0
	v_and_b32_e32 v0, 1, v53
	v_mov_b32_e32 v1, 0
	v_lshl_add_u64 v[8:9], v[0:1], 0, -1
	v_cmp_ne_u32_e32 vcc, 0, v0
	; wave barrier
	s_nop 1
	v_xor_b32_e32 v8, vcc_lo, v8
	v_xor_b32_e32 v0, vcc_hi, v9
	v_and_b32_e32 v54, exec_lo, v8
	v_lshlrev_b32_e32 v9, 30, v53
	v_mov_b32_e32 v8, v1
	v_cmp_gt_i64_e32 vcc, 0, v[8:9]
	v_not_b32_e32 v8, v9
	v_ashrrev_i32_e32 v8, 31, v8
	v_and_b32_e32 v0, exec_hi, v0
	v_xor_b32_e32 v9, vcc_hi, v8
	v_xor_b32_e32 v8, vcc_lo, v8
	v_and_b32_e32 v0, v0, v9
	v_and_b32_e32 v54, v54, v8
	v_lshlrev_b32_e32 v9, 29, v53
	v_mov_b32_e32 v8, v1
	v_cmp_gt_i64_e32 vcc, 0, v[8:9]
	v_not_b32_e32 v8, v9
	v_ashrrev_i32_e32 v8, 31, v8
	v_xor_b32_e32 v9, vcc_hi, v8
	v_xor_b32_e32 v8, vcc_lo, v8
	v_and_b32_e32 v0, v0, v9
	v_and_b32_e32 v54, v54, v8
	v_lshlrev_b32_e32 v9, 28, v53
	v_mov_b32_e32 v8, v1
	v_cmp_gt_i64_e32 vcc, 0, v[8:9]
	v_not_b32_e32 v8, v9
	v_ashrrev_i32_e32 v8, 31, v8
	;; [unrolled: 9-line block ×6, first 2 shown]
	v_xor_b32_e32 v9, vcc_hi, v8
	v_xor_b32_e32 v8, vcc_lo, v8
	ds_read_b32 v49, v51 offset:16
	v_and_b32_e32 v8, v54, v8
	v_and_b32_e32 v9, v0, v9
	v_mbcnt_lo_u32_b32 v0, v8, 0
	v_mbcnt_hi_u32_b32 v53, v9, v0
	v_cmp_eq_u32_e32 vcc, 0, v53
	v_cmp_ne_u64_e64 s[0:1], 0, v[8:9]
	s_and_b64 s[4:5], s[0:1], vcc
	; wave barrier
	s_and_saveexec_b64 s[0:1], s[4:5]
	s_cbranch_execz .LBB14_303
; %bb.302:
	v_bcnt_u32_b32 v0, v8, 0
	v_bcnt_u32_b32 v0, v9, v0
	s_waitcnt lgkmcnt(0)
	v_add_u32_e32 v0, v49, v0
	ds_write_b32 v51, v0 offset:16
.LBB14_303:
	s_or_b64 exec, exec, s[0:1]
	s_waitcnt vmcnt(12)
	v_xor_b32_e32 v52, 0x7fffffff, v52
	v_lshrrev_b32_e32 v0, s8, v52
	v_and_b32_e32 v58, s9, v0
	v_mul_lo_u32 v0, v58, 20
	v_lshl_add_u32 v56, v21, 2, v0
	v_and_b32_e32 v0, 1, v58
	v_lshl_add_u64 v[8:9], v[0:1], 0, -1
	v_cmp_ne_u32_e32 vcc, 0, v0
	; wave barrier
	s_nop 1
	v_xor_b32_e32 v8, vcc_lo, v8
	v_xor_b32_e32 v0, vcc_hi, v9
	v_and_b32_e32 v59, exec_lo, v8
	v_lshlrev_b32_e32 v9, 30, v58
	v_mov_b32_e32 v8, v1
	v_cmp_gt_i64_e32 vcc, 0, v[8:9]
	v_not_b32_e32 v8, v9
	v_ashrrev_i32_e32 v8, 31, v8
	v_and_b32_e32 v0, exec_hi, v0
	v_xor_b32_e32 v9, vcc_hi, v8
	v_xor_b32_e32 v8, vcc_lo, v8
	v_and_b32_e32 v0, v0, v9
	v_and_b32_e32 v59, v59, v8
	v_lshlrev_b32_e32 v9, 29, v58
	v_mov_b32_e32 v8, v1
	v_cmp_gt_i64_e32 vcc, 0, v[8:9]
	v_not_b32_e32 v8, v9
	v_ashrrev_i32_e32 v8, 31, v8
	v_xor_b32_e32 v9, vcc_hi, v8
	v_xor_b32_e32 v8, vcc_lo, v8
	v_and_b32_e32 v0, v0, v9
	v_and_b32_e32 v59, v59, v8
	v_lshlrev_b32_e32 v9, 28, v58
	v_mov_b32_e32 v8, v1
	v_cmp_gt_i64_e32 vcc, 0, v[8:9]
	v_not_b32_e32 v8, v9
	v_ashrrev_i32_e32 v8, 31, v8
	;; [unrolled: 9-line block ×5, first 2 shown]
	v_xor_b32_e32 v9, vcc_hi, v8
	v_xor_b32_e32 v8, vcc_lo, v8
	v_and_b32_e32 v0, v0, v9
	v_lshlrev_b32_e32 v9, 24, v58
	v_and_b32_e32 v59, v59, v8
	v_mov_b32_e32 v8, v1
	v_not_b32_e32 v1, v9
	v_cmp_gt_i64_e32 vcc, 0, v[8:9]
	v_ashrrev_i32_e32 v1, 31, v1
	ds_read_b32 v54, v56 offset:16
	v_xor_b32_e32 v8, vcc_hi, v1
	v_xor_b32_e32 v9, vcc_lo, v1
	v_and_b32_e32 v1, v0, v8
	v_and_b32_e32 v0, v59, v9
	v_mbcnt_lo_u32_b32 v8, v0, 0
	v_mbcnt_hi_u32_b32 v58, v1, v8
	v_cmp_eq_u32_e32 vcc, 0, v58
	v_cmp_ne_u64_e64 s[0:1], 0, v[0:1]
	s_and_b64 s[4:5], s[0:1], vcc
	; wave barrier
	s_and_saveexec_b64 s[0:1], s[4:5]
	s_cbranch_execz .LBB14_305
; %bb.304:
	v_bcnt_u32_b32 v0, v0, 0
	v_bcnt_u32_b32 v0, v1, v0
	s_waitcnt lgkmcnt(0)
	v_add_u32_e32 v0, v54, v0
	ds_write_b32 v56, v0 offset:16
.LBB14_305:
	s_or_b64 exec, exec, s[0:1]
	s_waitcnt vmcnt(11)
	v_xor_b32_e32 v57, 0x7fffffff, v57
	v_lshrrev_b32_e32 v0, s8, v57
	v_and_b32_e32 v63, s9, v0
	v_mul_lo_u32 v0, v63, 20
	v_lshl_add_u32 v61, v21, 2, v0
	v_and_b32_e32 v0, 1, v63
	v_mov_b32_e32 v1, 0
	v_lshl_add_u64 v[8:9], v[0:1], 0, -1
	v_cmp_ne_u32_e32 vcc, 0, v0
	; wave barrier
	s_nop 1
	v_xor_b32_e32 v8, vcc_lo, v8
	v_xor_b32_e32 v0, vcc_hi, v9
	v_and_b32_e32 v64, exec_lo, v8
	v_lshlrev_b32_e32 v9, 30, v63
	v_mov_b32_e32 v8, v1
	v_cmp_gt_i64_e32 vcc, 0, v[8:9]
	v_not_b32_e32 v8, v9
	v_ashrrev_i32_e32 v8, 31, v8
	v_and_b32_e32 v0, exec_hi, v0
	v_xor_b32_e32 v9, vcc_hi, v8
	v_xor_b32_e32 v8, vcc_lo, v8
	v_and_b32_e32 v0, v0, v9
	v_and_b32_e32 v64, v64, v8
	v_lshlrev_b32_e32 v9, 29, v63
	v_mov_b32_e32 v8, v1
	v_cmp_gt_i64_e32 vcc, 0, v[8:9]
	v_not_b32_e32 v8, v9
	v_ashrrev_i32_e32 v8, 31, v8
	v_xor_b32_e32 v9, vcc_hi, v8
	v_xor_b32_e32 v8, vcc_lo, v8
	v_and_b32_e32 v0, v0, v9
	v_and_b32_e32 v64, v64, v8
	v_lshlrev_b32_e32 v9, 28, v63
	v_mov_b32_e32 v8, v1
	v_cmp_gt_i64_e32 vcc, 0, v[8:9]
	v_not_b32_e32 v8, v9
	v_ashrrev_i32_e32 v8, 31, v8
	;; [unrolled: 9-line block ×6, first 2 shown]
	v_xor_b32_e32 v9, vcc_hi, v8
	v_xor_b32_e32 v8, vcc_lo, v8
	ds_read_b32 v59, v61 offset:16
	v_and_b32_e32 v8, v64, v8
	v_and_b32_e32 v9, v0, v9
	v_mbcnt_lo_u32_b32 v0, v8, 0
	v_mbcnt_hi_u32_b32 v63, v9, v0
	v_cmp_eq_u32_e32 vcc, 0, v63
	v_cmp_ne_u64_e64 s[0:1], 0, v[8:9]
	s_and_b64 s[4:5], s[0:1], vcc
	; wave barrier
	s_and_saveexec_b64 s[0:1], s[4:5]
	s_cbranch_execz .LBB14_307
; %bb.306:
	v_bcnt_u32_b32 v0, v8, 0
	v_bcnt_u32_b32 v0, v9, v0
	s_waitcnt lgkmcnt(0)
	v_add_u32_e32 v0, v59, v0
	ds_write_b32 v61, v0 offset:16
.LBB14_307:
	s_or_b64 exec, exec, s[0:1]
	s_waitcnt vmcnt(10)
	v_xor_b32_e32 v62, 0x7fffffff, v62
	v_lshrrev_b32_e32 v0, s8, v62
	v_and_b32_e32 v67, s9, v0
	v_mul_lo_u32 v0, v67, 20
	v_lshl_add_u32 v66, v21, 2, v0
	v_and_b32_e32 v0, 1, v67
	v_lshl_add_u64 v[8:9], v[0:1], 0, -1
	v_cmp_ne_u32_e32 vcc, 0, v0
	; wave barrier
	s_nop 1
	v_xor_b32_e32 v8, vcc_lo, v8
	v_xor_b32_e32 v0, vcc_hi, v9
	v_and_b32_e32 v68, exec_lo, v8
	v_lshlrev_b32_e32 v9, 30, v67
	v_mov_b32_e32 v8, v1
	v_cmp_gt_i64_e32 vcc, 0, v[8:9]
	v_not_b32_e32 v8, v9
	v_ashrrev_i32_e32 v8, 31, v8
	v_and_b32_e32 v0, exec_hi, v0
	v_xor_b32_e32 v9, vcc_hi, v8
	v_xor_b32_e32 v8, vcc_lo, v8
	v_and_b32_e32 v0, v0, v9
	v_and_b32_e32 v68, v68, v8
	v_lshlrev_b32_e32 v9, 29, v67
	v_mov_b32_e32 v8, v1
	v_cmp_gt_i64_e32 vcc, 0, v[8:9]
	v_not_b32_e32 v8, v9
	v_ashrrev_i32_e32 v8, 31, v8
	v_xor_b32_e32 v9, vcc_hi, v8
	v_xor_b32_e32 v8, vcc_lo, v8
	v_and_b32_e32 v0, v0, v9
	v_and_b32_e32 v68, v68, v8
	v_lshlrev_b32_e32 v9, 28, v67
	v_mov_b32_e32 v8, v1
	v_cmp_gt_i64_e32 vcc, 0, v[8:9]
	v_not_b32_e32 v8, v9
	v_ashrrev_i32_e32 v8, 31, v8
	;; [unrolled: 9-line block ×5, first 2 shown]
	v_xor_b32_e32 v9, vcc_hi, v8
	v_xor_b32_e32 v8, vcc_lo, v8
	v_and_b32_e32 v0, v0, v9
	v_lshlrev_b32_e32 v9, 24, v67
	v_and_b32_e32 v68, v68, v8
	v_mov_b32_e32 v8, v1
	v_not_b32_e32 v1, v9
	v_cmp_gt_i64_e32 vcc, 0, v[8:9]
	v_ashrrev_i32_e32 v1, 31, v1
	ds_read_b32 v64, v66 offset:16
	v_xor_b32_e32 v8, vcc_hi, v1
	v_xor_b32_e32 v9, vcc_lo, v1
	v_and_b32_e32 v1, v0, v8
	v_and_b32_e32 v0, v68, v9
	v_mbcnt_lo_u32_b32 v8, v0, 0
	v_mbcnt_hi_u32_b32 v67, v1, v8
	v_cmp_eq_u32_e32 vcc, 0, v67
	v_cmp_ne_u64_e64 s[0:1], 0, v[0:1]
	s_and_b64 s[4:5], s[0:1], vcc
	; wave barrier
	s_and_saveexec_b64 s[0:1], s[4:5]
	s_cbranch_execz .LBB14_309
; %bb.308:
	v_bcnt_u32_b32 v0, v0, 0
	v_bcnt_u32_b32 v0, v1, v0
	s_waitcnt lgkmcnt(0)
	v_add_u32_e32 v0, v64, v0
	ds_write_b32 v66, v0 offset:16
.LBB14_309:
	s_or_b64 exec, exec, s[0:1]
	s_waitcnt vmcnt(9)
	v_xor_b32_e32 v65, 0x7fffffff, v65
	v_lshrrev_b32_e32 v0, s8, v65
	v_and_b32_e32 v70, s9, v0
	v_mul_lo_u32 v0, v70, 20
	v_lshl_add_u32 v69, v21, 2, v0
	v_and_b32_e32 v0, 1, v70
	v_mov_b32_e32 v1, 0
	v_lshl_add_u64 v[8:9], v[0:1], 0, -1
	v_cmp_ne_u32_e32 vcc, 0, v0
	; wave barrier
	s_nop 1
	v_xor_b32_e32 v8, vcc_lo, v8
	v_xor_b32_e32 v0, vcc_hi, v9
	v_and_b32_e32 v71, exec_lo, v8
	v_lshlrev_b32_e32 v9, 30, v70
	v_mov_b32_e32 v8, v1
	v_cmp_gt_i64_e32 vcc, 0, v[8:9]
	v_not_b32_e32 v8, v9
	v_ashrrev_i32_e32 v8, 31, v8
	v_and_b32_e32 v0, exec_hi, v0
	v_xor_b32_e32 v9, vcc_hi, v8
	v_xor_b32_e32 v8, vcc_lo, v8
	v_and_b32_e32 v0, v0, v9
	v_and_b32_e32 v71, v71, v8
	v_lshlrev_b32_e32 v9, 29, v70
	v_mov_b32_e32 v8, v1
	v_cmp_gt_i64_e32 vcc, 0, v[8:9]
	v_not_b32_e32 v8, v9
	v_ashrrev_i32_e32 v8, 31, v8
	v_xor_b32_e32 v9, vcc_hi, v8
	v_xor_b32_e32 v8, vcc_lo, v8
	v_and_b32_e32 v0, v0, v9
	v_and_b32_e32 v71, v71, v8
	v_lshlrev_b32_e32 v9, 28, v70
	v_mov_b32_e32 v8, v1
	v_cmp_gt_i64_e32 vcc, 0, v[8:9]
	v_not_b32_e32 v8, v9
	v_ashrrev_i32_e32 v8, 31, v8
	;; [unrolled: 9-line block ×6, first 2 shown]
	v_xor_b32_e32 v9, vcc_hi, v8
	v_xor_b32_e32 v8, vcc_lo, v8
	ds_read_b32 v68, v69 offset:16
	v_and_b32_e32 v8, v71, v8
	v_and_b32_e32 v9, v0, v9
	v_mbcnt_lo_u32_b32 v0, v8, 0
	v_mbcnt_hi_u32_b32 v70, v9, v0
	v_cmp_eq_u32_e32 vcc, 0, v70
	v_cmp_ne_u64_e64 s[0:1], 0, v[8:9]
	s_and_b64 s[4:5], s[0:1], vcc
	; wave barrier
	s_and_saveexec_b64 s[0:1], s[4:5]
	s_cbranch_execz .LBB14_311
; %bb.310:
	v_bcnt_u32_b32 v0, v8, 0
	v_bcnt_u32_b32 v0, v9, v0
	s_waitcnt lgkmcnt(0)
	v_add_u32_e32 v0, v68, v0
	ds_write_b32 v69, v0 offset:16
.LBB14_311:
	s_or_b64 exec, exec, s[0:1]
	s_waitcnt vmcnt(8)
	v_xor_b32_e32 v60, 0x7fffffff, v60
	v_lshrrev_b32_e32 v0, s8, v60
	v_and_b32_e32 v73, s9, v0
	v_mul_lo_u32 v0, v73, 20
	v_lshl_add_u32 v72, v21, 2, v0
	v_and_b32_e32 v0, 1, v73
	v_lshl_add_u64 v[8:9], v[0:1], 0, -1
	v_cmp_ne_u32_e32 vcc, 0, v0
	; wave barrier
	s_nop 1
	v_xor_b32_e32 v8, vcc_lo, v8
	v_xor_b32_e32 v0, vcc_hi, v9
	v_and_b32_e32 v74, exec_lo, v8
	v_lshlrev_b32_e32 v9, 30, v73
	v_mov_b32_e32 v8, v1
	v_cmp_gt_i64_e32 vcc, 0, v[8:9]
	v_not_b32_e32 v8, v9
	v_ashrrev_i32_e32 v8, 31, v8
	v_and_b32_e32 v0, exec_hi, v0
	v_xor_b32_e32 v9, vcc_hi, v8
	v_xor_b32_e32 v8, vcc_lo, v8
	v_and_b32_e32 v0, v0, v9
	v_and_b32_e32 v74, v74, v8
	v_lshlrev_b32_e32 v9, 29, v73
	v_mov_b32_e32 v8, v1
	v_cmp_gt_i64_e32 vcc, 0, v[8:9]
	v_not_b32_e32 v8, v9
	v_ashrrev_i32_e32 v8, 31, v8
	v_xor_b32_e32 v9, vcc_hi, v8
	v_xor_b32_e32 v8, vcc_lo, v8
	v_and_b32_e32 v0, v0, v9
	v_and_b32_e32 v74, v74, v8
	v_lshlrev_b32_e32 v9, 28, v73
	v_mov_b32_e32 v8, v1
	v_cmp_gt_i64_e32 vcc, 0, v[8:9]
	v_not_b32_e32 v8, v9
	v_ashrrev_i32_e32 v8, 31, v8
	;; [unrolled: 9-line block ×5, first 2 shown]
	v_xor_b32_e32 v9, vcc_hi, v8
	v_xor_b32_e32 v8, vcc_lo, v8
	v_and_b32_e32 v0, v0, v9
	v_lshlrev_b32_e32 v9, 24, v73
	v_and_b32_e32 v74, v74, v8
	v_mov_b32_e32 v8, v1
	v_not_b32_e32 v1, v9
	v_cmp_gt_i64_e32 vcc, 0, v[8:9]
	v_ashrrev_i32_e32 v1, 31, v1
	ds_read_b32 v71, v72 offset:16
	v_xor_b32_e32 v8, vcc_hi, v1
	v_xor_b32_e32 v9, vcc_lo, v1
	v_and_b32_e32 v1, v0, v8
	v_and_b32_e32 v0, v74, v9
	v_mbcnt_lo_u32_b32 v8, v0, 0
	v_mbcnt_hi_u32_b32 v73, v1, v8
	v_cmp_eq_u32_e32 vcc, 0, v73
	v_cmp_ne_u64_e64 s[0:1], 0, v[0:1]
	s_and_b64 s[4:5], s[0:1], vcc
	; wave barrier
	s_and_saveexec_b64 s[0:1], s[4:5]
	s_cbranch_execz .LBB14_313
; %bb.312:
	v_bcnt_u32_b32 v0, v0, 0
	v_bcnt_u32_b32 v0, v1, v0
	s_waitcnt lgkmcnt(0)
	v_add_u32_e32 v0, v71, v0
	ds_write_b32 v72, v0 offset:16
.LBB14_313:
	s_or_b64 exec, exec, s[0:1]
	s_waitcnt vmcnt(7)
	v_xor_b32_e32 v55, 0x7fffffff, v55
	v_lshrrev_b32_e32 v0, s8, v55
	v_and_b32_e32 v76, s9, v0
	v_mul_lo_u32 v0, v76, 20
	v_lshl_add_u32 v75, v21, 2, v0
	v_and_b32_e32 v0, 1, v76
	v_mov_b32_e32 v1, 0
	v_lshl_add_u64 v[8:9], v[0:1], 0, -1
	v_cmp_ne_u32_e32 vcc, 0, v0
	; wave barrier
	s_nop 1
	v_xor_b32_e32 v8, vcc_lo, v8
	v_xor_b32_e32 v0, vcc_hi, v9
	v_and_b32_e32 v77, exec_lo, v8
	v_lshlrev_b32_e32 v9, 30, v76
	v_mov_b32_e32 v8, v1
	v_cmp_gt_i64_e32 vcc, 0, v[8:9]
	v_not_b32_e32 v8, v9
	v_ashrrev_i32_e32 v8, 31, v8
	v_and_b32_e32 v0, exec_hi, v0
	v_xor_b32_e32 v9, vcc_hi, v8
	v_xor_b32_e32 v8, vcc_lo, v8
	v_and_b32_e32 v0, v0, v9
	v_and_b32_e32 v77, v77, v8
	v_lshlrev_b32_e32 v9, 29, v76
	v_mov_b32_e32 v8, v1
	v_cmp_gt_i64_e32 vcc, 0, v[8:9]
	v_not_b32_e32 v8, v9
	v_ashrrev_i32_e32 v8, 31, v8
	v_xor_b32_e32 v9, vcc_hi, v8
	v_xor_b32_e32 v8, vcc_lo, v8
	v_and_b32_e32 v0, v0, v9
	v_and_b32_e32 v77, v77, v8
	v_lshlrev_b32_e32 v9, 28, v76
	v_mov_b32_e32 v8, v1
	v_cmp_gt_i64_e32 vcc, 0, v[8:9]
	v_not_b32_e32 v8, v9
	v_ashrrev_i32_e32 v8, 31, v8
	v_xor_b32_e32 v9, vcc_hi, v8
	v_xor_b32_e32 v8, vcc_lo, v8
	v_and_b32_e32 v0, v0, v9
	v_and_b32_e32 v77, v77, v8
	v_lshlrev_b32_e32 v9, 27, v76
	v_mov_b32_e32 v8, v1
	v_cmp_gt_i64_e32 vcc, 0, v[8:9]
	v_not_b32_e32 v8, v9
	v_ashrrev_i32_e32 v8, 31, v8
	v_xor_b32_e32 v9, vcc_hi, v8
	v_xor_b32_e32 v8, vcc_lo, v8
	v_and_b32_e32 v0, v0, v9
	v_and_b32_e32 v77, v77, v8
	v_lshlrev_b32_e32 v9, 26, v76
	v_mov_b32_e32 v8, v1
	v_cmp_gt_i64_e32 vcc, 0, v[8:9]
	v_not_b32_e32 v8, v9
	v_ashrrev_i32_e32 v8, 31, v8
	v_xor_b32_e32 v9, vcc_hi, v8
	v_xor_b32_e32 v8, vcc_lo, v8
	v_and_b32_e32 v0, v0, v9
	v_and_b32_e32 v77, v77, v8
	v_lshlrev_b32_e32 v9, 25, v76
	v_mov_b32_e32 v8, v1
	v_cmp_gt_i64_e32 vcc, 0, v[8:9]
	v_not_b32_e32 v8, v9
	v_ashrrev_i32_e32 v8, 31, v8
	v_xor_b32_e32 v9, vcc_hi, v8
	v_xor_b32_e32 v8, vcc_lo, v8
	v_and_b32_e32 v0, v0, v9
	v_and_b32_e32 v77, v77, v8
	v_lshlrev_b32_e32 v9, 24, v76
	v_mov_b32_e32 v8, v1
	v_cmp_gt_i64_e32 vcc, 0, v[8:9]
	v_not_b32_e32 v8, v9
	v_ashrrev_i32_e32 v8, 31, v8
	v_xor_b32_e32 v9, vcc_hi, v8
	v_xor_b32_e32 v8, vcc_lo, v8
	ds_read_b32 v74, v75 offset:16
	v_and_b32_e32 v8, v77, v8
	v_and_b32_e32 v9, v0, v9
	v_mbcnt_lo_u32_b32 v0, v8, 0
	v_mbcnt_hi_u32_b32 v76, v9, v0
	v_cmp_eq_u32_e32 vcc, 0, v76
	v_cmp_ne_u64_e64 s[0:1], 0, v[8:9]
	s_and_b64 s[4:5], s[0:1], vcc
	; wave barrier
	s_and_saveexec_b64 s[0:1], s[4:5]
	s_cbranch_execz .LBB14_315
; %bb.314:
	v_bcnt_u32_b32 v0, v8, 0
	v_bcnt_u32_b32 v0, v9, v0
	s_waitcnt lgkmcnt(0)
	v_add_u32_e32 v0, v74, v0
	ds_write_b32 v75, v0 offset:16
.LBB14_315:
	s_or_b64 exec, exec, s[0:1]
	s_waitcnt vmcnt(6)
	v_xor_b32_e32 v50, 0x7fffffff, v50
	v_lshrrev_b32_e32 v0, s8, v50
	v_and_b32_e32 v79, s9, v0
	v_mul_lo_u32 v0, v79, 20
	v_lshl_add_u32 v78, v21, 2, v0
	v_and_b32_e32 v0, 1, v79
	v_lshl_add_u64 v[8:9], v[0:1], 0, -1
	v_cmp_ne_u32_e32 vcc, 0, v0
	; wave barrier
	s_nop 1
	v_xor_b32_e32 v8, vcc_lo, v8
	v_xor_b32_e32 v0, vcc_hi, v9
	v_and_b32_e32 v80, exec_lo, v8
	v_lshlrev_b32_e32 v9, 30, v79
	v_mov_b32_e32 v8, v1
	v_cmp_gt_i64_e32 vcc, 0, v[8:9]
	v_not_b32_e32 v8, v9
	v_ashrrev_i32_e32 v8, 31, v8
	v_and_b32_e32 v0, exec_hi, v0
	v_xor_b32_e32 v9, vcc_hi, v8
	v_xor_b32_e32 v8, vcc_lo, v8
	v_and_b32_e32 v0, v0, v9
	v_and_b32_e32 v80, v80, v8
	v_lshlrev_b32_e32 v9, 29, v79
	v_mov_b32_e32 v8, v1
	v_cmp_gt_i64_e32 vcc, 0, v[8:9]
	v_not_b32_e32 v8, v9
	v_ashrrev_i32_e32 v8, 31, v8
	v_xor_b32_e32 v9, vcc_hi, v8
	v_xor_b32_e32 v8, vcc_lo, v8
	v_and_b32_e32 v0, v0, v9
	v_and_b32_e32 v80, v80, v8
	v_lshlrev_b32_e32 v9, 28, v79
	v_mov_b32_e32 v8, v1
	v_cmp_gt_i64_e32 vcc, 0, v[8:9]
	v_not_b32_e32 v8, v9
	v_ashrrev_i32_e32 v8, 31, v8
	v_xor_b32_e32 v9, vcc_hi, v8
	v_xor_b32_e32 v8, vcc_lo, v8
	v_and_b32_e32 v0, v0, v9
	v_and_b32_e32 v80, v80, v8
	v_lshlrev_b32_e32 v9, 27, v79
	v_mov_b32_e32 v8, v1
	v_cmp_gt_i64_e32 vcc, 0, v[8:9]
	v_not_b32_e32 v8, v9
	v_ashrrev_i32_e32 v8, 31, v8
	v_xor_b32_e32 v9, vcc_hi, v8
	v_xor_b32_e32 v8, vcc_lo, v8
	v_and_b32_e32 v0, v0, v9
	v_and_b32_e32 v80, v80, v8
	v_lshlrev_b32_e32 v9, 26, v79
	v_mov_b32_e32 v8, v1
	v_cmp_gt_i64_e32 vcc, 0, v[8:9]
	v_not_b32_e32 v8, v9
	v_ashrrev_i32_e32 v8, 31, v8
	v_xor_b32_e32 v9, vcc_hi, v8
	v_xor_b32_e32 v8, vcc_lo, v8
	v_and_b32_e32 v0, v0, v9
	v_and_b32_e32 v80, v80, v8
	v_lshlrev_b32_e32 v9, 25, v79
	v_mov_b32_e32 v8, v1
	v_cmp_gt_i64_e32 vcc, 0, v[8:9]
	v_not_b32_e32 v8, v9
	v_ashrrev_i32_e32 v8, 31, v8
	v_xor_b32_e32 v9, vcc_hi, v8
	v_xor_b32_e32 v8, vcc_lo, v8
	v_and_b32_e32 v0, v0, v9
	v_lshlrev_b32_e32 v9, 24, v79
	v_and_b32_e32 v80, v80, v8
	v_mov_b32_e32 v8, v1
	v_not_b32_e32 v1, v9
	v_cmp_gt_i64_e32 vcc, 0, v[8:9]
	v_ashrrev_i32_e32 v1, 31, v1
	ds_read_b32 v77, v78 offset:16
	v_xor_b32_e32 v8, vcc_hi, v1
	v_xor_b32_e32 v9, vcc_lo, v1
	v_and_b32_e32 v1, v0, v8
	v_and_b32_e32 v0, v80, v9
	v_mbcnt_lo_u32_b32 v8, v0, 0
	v_mbcnt_hi_u32_b32 v79, v1, v8
	v_cmp_eq_u32_e32 vcc, 0, v79
	v_cmp_ne_u64_e64 s[0:1], 0, v[0:1]
	s_and_b64 s[4:5], s[0:1], vcc
	; wave barrier
	s_and_saveexec_b64 s[0:1], s[4:5]
	s_cbranch_execz .LBB14_317
; %bb.316:
	v_bcnt_u32_b32 v0, v0, 0
	v_bcnt_u32_b32 v0, v1, v0
	s_waitcnt lgkmcnt(0)
	v_add_u32_e32 v0, v77, v0
	ds_write_b32 v78, v0 offset:16
.LBB14_317:
	s_or_b64 exec, exec, s[0:1]
	s_waitcnt vmcnt(5)
	v_xor_b32_e32 v45, 0x7fffffff, v45
	v_lshrrev_b32_e32 v0, s8, v45
	v_and_b32_e32 v82, s9, v0
	v_mul_lo_u32 v0, v82, 20
	v_lshl_add_u32 v81, v21, 2, v0
	v_and_b32_e32 v0, 1, v82
	v_mov_b32_e32 v1, 0
	v_lshl_add_u64 v[8:9], v[0:1], 0, -1
	v_cmp_ne_u32_e32 vcc, 0, v0
	; wave barrier
	s_nop 1
	v_xor_b32_e32 v8, vcc_lo, v8
	v_xor_b32_e32 v0, vcc_hi, v9
	v_and_b32_e32 v83, exec_lo, v8
	v_lshlrev_b32_e32 v9, 30, v82
	v_mov_b32_e32 v8, v1
	v_cmp_gt_i64_e32 vcc, 0, v[8:9]
	v_not_b32_e32 v8, v9
	v_ashrrev_i32_e32 v8, 31, v8
	v_and_b32_e32 v0, exec_hi, v0
	v_xor_b32_e32 v9, vcc_hi, v8
	v_xor_b32_e32 v8, vcc_lo, v8
	v_and_b32_e32 v0, v0, v9
	v_and_b32_e32 v83, v83, v8
	v_lshlrev_b32_e32 v9, 29, v82
	v_mov_b32_e32 v8, v1
	v_cmp_gt_i64_e32 vcc, 0, v[8:9]
	v_not_b32_e32 v8, v9
	v_ashrrev_i32_e32 v8, 31, v8
	v_xor_b32_e32 v9, vcc_hi, v8
	v_xor_b32_e32 v8, vcc_lo, v8
	v_and_b32_e32 v0, v0, v9
	v_and_b32_e32 v83, v83, v8
	v_lshlrev_b32_e32 v9, 28, v82
	v_mov_b32_e32 v8, v1
	v_cmp_gt_i64_e32 vcc, 0, v[8:9]
	v_not_b32_e32 v8, v9
	v_ashrrev_i32_e32 v8, 31, v8
	;; [unrolled: 9-line block ×6, first 2 shown]
	v_xor_b32_e32 v9, vcc_hi, v8
	v_xor_b32_e32 v8, vcc_lo, v8
	ds_read_b32 v80, v81 offset:16
	v_and_b32_e32 v8, v83, v8
	v_and_b32_e32 v9, v0, v9
	v_mbcnt_lo_u32_b32 v0, v8, 0
	v_mbcnt_hi_u32_b32 v82, v9, v0
	v_cmp_eq_u32_e32 vcc, 0, v82
	v_cmp_ne_u64_e64 s[0:1], 0, v[8:9]
	s_and_b64 s[4:5], s[0:1], vcc
	; wave barrier
	s_and_saveexec_b64 s[0:1], s[4:5]
	s_cbranch_execz .LBB14_319
; %bb.318:
	v_bcnt_u32_b32 v0, v8, 0
	v_bcnt_u32_b32 v0, v9, v0
	s_waitcnt lgkmcnt(0)
	v_add_u32_e32 v0, v80, v0
	ds_write_b32 v81, v0 offset:16
.LBB14_319:
	s_or_b64 exec, exec, s[0:1]
	s_waitcnt vmcnt(4)
	v_xor_b32_e32 v41, 0x7fffffff, v41
	v_lshrrev_b32_e32 v0, s8, v41
	v_and_b32_e32 v85, s9, v0
	v_mul_lo_u32 v0, v85, 20
	v_lshl_add_u32 v84, v21, 2, v0
	v_and_b32_e32 v0, 1, v85
	v_lshl_add_u64 v[8:9], v[0:1], 0, -1
	v_cmp_ne_u32_e32 vcc, 0, v0
	; wave barrier
	s_nop 1
	v_xor_b32_e32 v8, vcc_lo, v8
	v_xor_b32_e32 v0, vcc_hi, v9
	v_and_b32_e32 v86, exec_lo, v8
	v_lshlrev_b32_e32 v9, 30, v85
	v_mov_b32_e32 v8, v1
	v_cmp_gt_i64_e32 vcc, 0, v[8:9]
	v_not_b32_e32 v8, v9
	v_ashrrev_i32_e32 v8, 31, v8
	v_and_b32_e32 v0, exec_hi, v0
	v_xor_b32_e32 v9, vcc_hi, v8
	v_xor_b32_e32 v8, vcc_lo, v8
	v_and_b32_e32 v0, v0, v9
	v_and_b32_e32 v86, v86, v8
	v_lshlrev_b32_e32 v9, 29, v85
	v_mov_b32_e32 v8, v1
	v_cmp_gt_i64_e32 vcc, 0, v[8:9]
	v_not_b32_e32 v8, v9
	v_ashrrev_i32_e32 v8, 31, v8
	v_xor_b32_e32 v9, vcc_hi, v8
	v_xor_b32_e32 v8, vcc_lo, v8
	v_and_b32_e32 v0, v0, v9
	v_and_b32_e32 v86, v86, v8
	v_lshlrev_b32_e32 v9, 28, v85
	v_mov_b32_e32 v8, v1
	v_cmp_gt_i64_e32 vcc, 0, v[8:9]
	v_not_b32_e32 v8, v9
	v_ashrrev_i32_e32 v8, 31, v8
	;; [unrolled: 9-line block ×5, first 2 shown]
	v_xor_b32_e32 v9, vcc_hi, v8
	v_xor_b32_e32 v8, vcc_lo, v8
	v_and_b32_e32 v0, v0, v9
	v_lshlrev_b32_e32 v9, 24, v85
	v_and_b32_e32 v86, v86, v8
	v_mov_b32_e32 v8, v1
	v_not_b32_e32 v1, v9
	v_cmp_gt_i64_e32 vcc, 0, v[8:9]
	v_ashrrev_i32_e32 v1, 31, v1
	ds_read_b32 v83, v84 offset:16
	v_xor_b32_e32 v8, vcc_hi, v1
	v_xor_b32_e32 v9, vcc_lo, v1
	v_and_b32_e32 v1, v0, v8
	v_and_b32_e32 v0, v86, v9
	v_mbcnt_lo_u32_b32 v8, v0, 0
	v_mbcnt_hi_u32_b32 v85, v1, v8
	v_cmp_eq_u32_e32 vcc, 0, v85
	v_cmp_ne_u64_e64 s[0:1], 0, v[0:1]
	s_and_b64 s[4:5], s[0:1], vcc
	; wave barrier
	s_and_saveexec_b64 s[0:1], s[4:5]
	s_cbranch_execz .LBB14_321
; %bb.320:
	v_bcnt_u32_b32 v0, v0, 0
	v_bcnt_u32_b32 v0, v1, v0
	s_waitcnt lgkmcnt(0)
	v_add_u32_e32 v0, v83, v0
	ds_write_b32 v84, v0 offset:16
.LBB14_321:
	s_or_b64 exec, exec, s[0:1]
	s_waitcnt vmcnt(3)
	v_xor_b32_e32 v36, 0x7fffffff, v36
	v_lshrrev_b32_e32 v0, s8, v36
	v_and_b32_e32 v88, s9, v0
	v_mul_lo_u32 v0, v88, 20
	v_lshl_add_u32 v87, v21, 2, v0
	v_and_b32_e32 v0, 1, v88
	v_mov_b32_e32 v1, 0
	v_lshl_add_u64 v[8:9], v[0:1], 0, -1
	v_cmp_ne_u32_e32 vcc, 0, v0
	; wave barrier
	s_nop 1
	v_xor_b32_e32 v8, vcc_lo, v8
	v_xor_b32_e32 v0, vcc_hi, v9
	v_and_b32_e32 v89, exec_lo, v8
	v_lshlrev_b32_e32 v9, 30, v88
	v_mov_b32_e32 v8, v1
	v_cmp_gt_i64_e32 vcc, 0, v[8:9]
	v_not_b32_e32 v8, v9
	v_ashrrev_i32_e32 v8, 31, v8
	v_and_b32_e32 v0, exec_hi, v0
	v_xor_b32_e32 v9, vcc_hi, v8
	v_xor_b32_e32 v8, vcc_lo, v8
	v_and_b32_e32 v0, v0, v9
	v_and_b32_e32 v89, v89, v8
	v_lshlrev_b32_e32 v9, 29, v88
	v_mov_b32_e32 v8, v1
	v_cmp_gt_i64_e32 vcc, 0, v[8:9]
	v_not_b32_e32 v8, v9
	v_ashrrev_i32_e32 v8, 31, v8
	v_xor_b32_e32 v9, vcc_hi, v8
	v_xor_b32_e32 v8, vcc_lo, v8
	v_and_b32_e32 v0, v0, v9
	v_and_b32_e32 v89, v89, v8
	v_lshlrev_b32_e32 v9, 28, v88
	v_mov_b32_e32 v8, v1
	v_cmp_gt_i64_e32 vcc, 0, v[8:9]
	v_not_b32_e32 v8, v9
	v_ashrrev_i32_e32 v8, 31, v8
	;; [unrolled: 9-line block ×6, first 2 shown]
	v_xor_b32_e32 v9, vcc_hi, v8
	v_xor_b32_e32 v8, vcc_lo, v8
	ds_read_b32 v86, v87 offset:16
	v_and_b32_e32 v8, v89, v8
	v_and_b32_e32 v9, v0, v9
	v_mbcnt_lo_u32_b32 v0, v8, 0
	v_mbcnt_hi_u32_b32 v89, v9, v0
	v_cmp_eq_u32_e32 vcc, 0, v89
	v_cmp_ne_u64_e64 s[0:1], 0, v[8:9]
	s_and_b64 s[4:5], s[0:1], vcc
	; wave barrier
	s_and_saveexec_b64 s[0:1], s[4:5]
	s_cbranch_execz .LBB14_323
; %bb.322:
	v_bcnt_u32_b32 v0, v8, 0
	v_bcnt_u32_b32 v0, v9, v0
	s_waitcnt lgkmcnt(0)
	v_add_u32_e32 v0, v86, v0
	ds_write_b32 v87, v0 offset:16
.LBB14_323:
	s_or_b64 exec, exec, s[0:1]
	s_waitcnt vmcnt(2)
	v_xor_b32_e32 v88, 0x7fffffff, v31
	v_lshrrev_b32_e32 v0, s8, v88
	v_and_b32_e32 v91, s9, v0
	v_mul_lo_u32 v0, v91, 20
	v_lshl_add_u32 v31, v21, 2, v0
	v_and_b32_e32 v0, 1, v91
	v_lshl_add_u64 v[8:9], v[0:1], 0, -1
	v_cmp_ne_u32_e32 vcc, 0, v0
	; wave barrier
	s_nop 1
	v_xor_b32_e32 v8, vcc_lo, v8
	v_xor_b32_e32 v0, vcc_hi, v9
	v_and_b32_e32 v92, exec_lo, v8
	v_lshlrev_b32_e32 v9, 30, v91
	v_mov_b32_e32 v8, v1
	v_cmp_gt_i64_e32 vcc, 0, v[8:9]
	v_not_b32_e32 v8, v9
	v_ashrrev_i32_e32 v8, 31, v8
	v_and_b32_e32 v0, exec_hi, v0
	v_xor_b32_e32 v9, vcc_hi, v8
	v_xor_b32_e32 v8, vcc_lo, v8
	v_and_b32_e32 v0, v0, v9
	v_and_b32_e32 v92, v92, v8
	v_lshlrev_b32_e32 v9, 29, v91
	v_mov_b32_e32 v8, v1
	v_cmp_gt_i64_e32 vcc, 0, v[8:9]
	v_not_b32_e32 v8, v9
	v_ashrrev_i32_e32 v8, 31, v8
	v_xor_b32_e32 v9, vcc_hi, v8
	v_xor_b32_e32 v8, vcc_lo, v8
	v_and_b32_e32 v0, v0, v9
	v_and_b32_e32 v92, v92, v8
	v_lshlrev_b32_e32 v9, 28, v91
	v_mov_b32_e32 v8, v1
	v_cmp_gt_i64_e32 vcc, 0, v[8:9]
	v_not_b32_e32 v8, v9
	v_ashrrev_i32_e32 v8, 31, v8
	v_xor_b32_e32 v9, vcc_hi, v8
	v_xor_b32_e32 v8, vcc_lo, v8
	v_and_b32_e32 v0, v0, v9
	v_and_b32_e32 v92, v92, v8
	v_lshlrev_b32_e32 v9, 27, v91
	v_mov_b32_e32 v8, v1
	v_cmp_gt_i64_e32 vcc, 0, v[8:9]
	v_not_b32_e32 v8, v9
	v_ashrrev_i32_e32 v8, 31, v8
	v_xor_b32_e32 v9, vcc_hi, v8
	v_xor_b32_e32 v8, vcc_lo, v8
	v_and_b32_e32 v0, v0, v9
	v_and_b32_e32 v92, v92, v8
	v_lshlrev_b32_e32 v9, 26, v91
	v_mov_b32_e32 v8, v1
	v_cmp_gt_i64_e32 vcc, 0, v[8:9]
	v_not_b32_e32 v8, v9
	v_ashrrev_i32_e32 v8, 31, v8
	v_xor_b32_e32 v9, vcc_hi, v8
	v_xor_b32_e32 v8, vcc_lo, v8
	v_and_b32_e32 v0, v0, v9
	v_and_b32_e32 v92, v92, v8
	v_lshlrev_b32_e32 v9, 25, v91
	v_mov_b32_e32 v8, v1
	v_cmp_gt_i64_e32 vcc, 0, v[8:9]
	v_not_b32_e32 v8, v9
	v_ashrrev_i32_e32 v8, 31, v8
	v_xor_b32_e32 v9, vcc_hi, v8
	v_xor_b32_e32 v8, vcc_lo, v8
	v_and_b32_e32 v0, v0, v9
	v_lshlrev_b32_e32 v9, 24, v91
	v_and_b32_e32 v92, v92, v8
	v_mov_b32_e32 v8, v1
	v_not_b32_e32 v1, v9
	v_cmp_gt_i64_e32 vcc, 0, v[8:9]
	v_ashrrev_i32_e32 v1, 31, v1
	ds_read_b32 v90, v31 offset:16
	v_xor_b32_e32 v8, vcc_hi, v1
	v_xor_b32_e32 v9, vcc_lo, v1
	v_and_b32_e32 v1, v0, v8
	v_and_b32_e32 v0, v92, v9
	v_mbcnt_lo_u32_b32 v8, v0, 0
	v_mbcnt_hi_u32_b32 v92, v1, v8
	v_cmp_eq_u32_e32 vcc, 0, v92
	v_cmp_ne_u64_e64 s[0:1], 0, v[0:1]
	s_and_b64 s[4:5], s[0:1], vcc
	; wave barrier
	s_and_saveexec_b64 s[0:1], s[4:5]
	s_cbranch_execz .LBB14_325
; %bb.324:
	v_bcnt_u32_b32 v0, v0, 0
	v_bcnt_u32_b32 v0, v1, v0
	s_waitcnt lgkmcnt(0)
	v_add_u32_e32 v0, v90, v0
	ds_write_b32 v31, v0 offset:16
.LBB14_325:
	s_or_b64 exec, exec, s[0:1]
	s_waitcnt vmcnt(1)
	v_xor_b32_e32 v91, 0x7fffffff, v26
	v_lshrrev_b32_e32 v0, s8, v91
	v_and_b32_e32 v94, s9, v0
	v_mul_lo_u32 v0, v94, 20
	v_lshl_add_u32 v26, v21, 2, v0
	v_and_b32_e32 v0, 1, v94
	v_mov_b32_e32 v1, 0
	v_lshl_add_u64 v[8:9], v[0:1], 0, -1
	v_cmp_ne_u32_e32 vcc, 0, v0
	; wave barrier
	s_nop 1
	v_xor_b32_e32 v8, vcc_lo, v8
	v_xor_b32_e32 v0, vcc_hi, v9
	v_and_b32_e32 v95, exec_lo, v8
	v_lshlrev_b32_e32 v9, 30, v94
	v_mov_b32_e32 v8, v1
	v_cmp_gt_i64_e32 vcc, 0, v[8:9]
	v_not_b32_e32 v8, v9
	v_ashrrev_i32_e32 v8, 31, v8
	v_and_b32_e32 v0, exec_hi, v0
	v_xor_b32_e32 v9, vcc_hi, v8
	v_xor_b32_e32 v8, vcc_lo, v8
	v_and_b32_e32 v0, v0, v9
	v_and_b32_e32 v95, v95, v8
	v_lshlrev_b32_e32 v9, 29, v94
	v_mov_b32_e32 v8, v1
	v_cmp_gt_i64_e32 vcc, 0, v[8:9]
	v_not_b32_e32 v8, v9
	v_ashrrev_i32_e32 v8, 31, v8
	v_xor_b32_e32 v9, vcc_hi, v8
	v_xor_b32_e32 v8, vcc_lo, v8
	v_and_b32_e32 v0, v0, v9
	v_and_b32_e32 v95, v95, v8
	v_lshlrev_b32_e32 v9, 28, v94
	v_mov_b32_e32 v8, v1
	v_cmp_gt_i64_e32 vcc, 0, v[8:9]
	v_not_b32_e32 v8, v9
	v_ashrrev_i32_e32 v8, 31, v8
	;; [unrolled: 9-line block ×6, first 2 shown]
	v_xor_b32_e32 v9, vcc_hi, v8
	v_xor_b32_e32 v8, vcc_lo, v8
	ds_read_b32 v93, v26 offset:16
	v_and_b32_e32 v8, v95, v8
	v_and_b32_e32 v9, v0, v9
	v_mbcnt_lo_u32_b32 v0, v8, 0
	v_mbcnt_hi_u32_b32 v95, v9, v0
	v_cmp_eq_u32_e32 vcc, 0, v95
	v_cmp_ne_u64_e64 s[0:1], 0, v[8:9]
	s_and_b64 s[4:5], s[0:1], vcc
	; wave barrier
	s_and_saveexec_b64 s[0:1], s[4:5]
	s_cbranch_execz .LBB14_327
; %bb.326:
	v_bcnt_u32_b32 v0, v8, 0
	v_bcnt_u32_b32 v0, v9, v0
	s_waitcnt lgkmcnt(0)
	v_add_u32_e32 v0, v93, v0
	ds_write_b32 v26, v0 offset:16
.LBB14_327:
	s_or_b64 exec, exec, s[0:1]
	s_waitcnt vmcnt(0)
	v_xor_b32_e32 v94, 0x7fffffff, v10
	v_lshrrev_b32_e32 v0, s8, v94
	v_and_b32_e32 v10, s9, v0
	v_mul_lo_u32 v0, v10, 20
	v_lshl_add_u32 v96, v21, 2, v0
	v_and_b32_e32 v0, 1, v10
	v_lshl_add_u64 v[8:9], v[0:1], 0, -1
	v_cmp_ne_u32_e32 vcc, 0, v0
	; wave barrier
	s_nop 1
	v_xor_b32_e32 v8, vcc_lo, v8
	v_xor_b32_e32 v0, vcc_hi, v9
	v_and_b32_e32 v97, exec_lo, v8
	v_lshlrev_b32_e32 v9, 30, v10
	v_mov_b32_e32 v8, v1
	v_cmp_gt_i64_e32 vcc, 0, v[8:9]
	v_not_b32_e32 v8, v9
	v_ashrrev_i32_e32 v8, 31, v8
	v_and_b32_e32 v0, exec_hi, v0
	v_xor_b32_e32 v9, vcc_hi, v8
	v_xor_b32_e32 v8, vcc_lo, v8
	v_and_b32_e32 v0, v0, v9
	v_and_b32_e32 v97, v97, v8
	v_lshlrev_b32_e32 v9, 29, v10
	v_mov_b32_e32 v8, v1
	v_cmp_gt_i64_e32 vcc, 0, v[8:9]
	v_not_b32_e32 v8, v9
	v_ashrrev_i32_e32 v8, 31, v8
	v_xor_b32_e32 v9, vcc_hi, v8
	v_xor_b32_e32 v8, vcc_lo, v8
	v_and_b32_e32 v0, v0, v9
	v_and_b32_e32 v97, v97, v8
	v_lshlrev_b32_e32 v9, 28, v10
	v_mov_b32_e32 v8, v1
	v_cmp_gt_i64_e32 vcc, 0, v[8:9]
	v_not_b32_e32 v8, v9
	v_ashrrev_i32_e32 v8, 31, v8
	;; [unrolled: 9-line block ×5, first 2 shown]
	v_xor_b32_e32 v9, vcc_hi, v8
	v_xor_b32_e32 v8, vcc_lo, v8
	v_and_b32_e32 v0, v0, v9
	v_lshlrev_b32_e32 v9, 24, v10
	v_and_b32_e32 v97, v97, v8
	v_mov_b32_e32 v8, v1
	v_not_b32_e32 v1, v9
	v_cmp_gt_i64_e32 vcc, 0, v[8:9]
	v_ashrrev_i32_e32 v1, 31, v1
	ds_read_b32 v21, v96 offset:16
	v_xor_b32_e32 v8, vcc_hi, v1
	v_xor_b32_e32 v9, vcc_lo, v1
	v_and_b32_e32 v1, v0, v8
	v_and_b32_e32 v0, v97, v9
	v_mbcnt_lo_u32_b32 v8, v0, 0
	v_mbcnt_hi_u32_b32 v97, v1, v8
	v_cmp_eq_u32_e32 vcc, 0, v97
	v_cmp_ne_u64_e64 s[0:1], 0, v[0:1]
	s_and_b64 s[4:5], s[0:1], vcc
	; wave barrier
	s_and_saveexec_b64 s[0:1], s[4:5]
	s_cbranch_execz .LBB14_329
; %bb.328:
	v_bcnt_u32_b32 v0, v0, 0
	v_bcnt_u32_b32 v0, v1, v0
	s_waitcnt lgkmcnt(0)
	v_add_u32_e32 v0, v21, v0
	ds_write_b32 v96, v0 offset:16
.LBB14_329:
	s_or_b64 exec, exec, s[0:1]
	; wave barrier
	s_waitcnt lgkmcnt(0)
	s_barrier
	ds_read2_b32 v[8:9], v3 offset0:4 offset1:5
	ds_read2_b32 v[0:1], v3 offset0:6 offset1:7
	ds_read_b32 v10, v3 offset:32
	v_min_u32_e32 v7, 0xc0, v7
	v_or_b32_e32 v7, 63, v7
	s_waitcnt lgkmcnt(1)
	v_add3_u32 v98, v9, v8, v0
	s_waitcnt lgkmcnt(0)
	v_add3_u32 v10, v98, v1, v10
	v_and_b32_e32 v98, 15, v4
	v_cmp_ne_u32_e32 vcc, 0, v98
	v_mov_b32_dpp v99, v10 row_shr:1 row_mask:0xf bank_mask:0xf
	s_nop 0
	v_cndmask_b32_e32 v99, 0, v99, vcc
	v_add_u32_e32 v10, v99, v10
	v_cmp_lt_u32_e32 vcc, 1, v98
	s_nop 0
	v_mov_b32_dpp v99, v10 row_shr:2 row_mask:0xf bank_mask:0xf
	v_cndmask_b32_e32 v99, 0, v99, vcc
	v_add_u32_e32 v10, v10, v99
	v_cmp_lt_u32_e32 vcc, 3, v98
	s_nop 0
	v_mov_b32_dpp v99, v10 row_shr:4 row_mask:0xf bank_mask:0xf
	;; [unrolled: 5-line block ×3, first 2 shown]
	v_cndmask_b32_e32 v98, 0, v99, vcc
	v_add_u32_e32 v10, v10, v98
	v_bfe_i32 v99, v4, 4, 1
	v_cmp_lt_u32_e32 vcc, 31, v4
	v_mov_b32_dpp v98, v10 row_bcast:15 row_mask:0xf bank_mask:0xf
	v_and_b32_e32 v98, v99, v98
	v_add_u32_e32 v10, v10, v98
	v_lshrrev_b32_e32 v99, 6, v2
	s_nop 0
	v_mov_b32_dpp v98, v10 row_bcast:31 row_mask:0xf bank_mask:0xf
	v_cndmask_b32_e32 v98, 0, v98, vcc
	v_add_u32_e32 v98, v10, v98
	v_cmp_eq_u32_e32 vcc, v2, v7
	s_and_saveexec_b64 s[0:1], vcc
; %bb.330:
	v_lshlrev_b32_e32 v7, 2, v99
	ds_write_b32 v7, v98
; %bb.331:
	s_or_b64 exec, exec, s[0:1]
	v_cmp_gt_u32_e32 vcc, 4, v2
	v_lshlrev_b32_e32 v10, 2, v2
	s_waitcnt lgkmcnt(0)
	s_barrier
	s_and_saveexec_b64 s[0:1], vcc
	s_cbranch_execz .LBB14_333
; %bb.332:
	ds_read_b32 v7, v10
	v_and_b32_e32 v100, 3, v4
	v_cmp_ne_u32_e32 vcc, 0, v100
	s_waitcnt lgkmcnt(0)
	v_mov_b32_dpp v101, v7 row_shr:1 row_mask:0xf bank_mask:0xf
	v_cndmask_b32_e32 v101, 0, v101, vcc
	v_add_u32_e32 v7, v101, v7
	v_cmp_lt_u32_e32 vcc, 1, v100
	s_nop 0
	v_mov_b32_dpp v101, v7 row_shr:2 row_mask:0xf bank_mask:0xf
	v_cndmask_b32_e32 v100, 0, v101, vcc
	v_add_u32_e32 v7, v7, v100
	ds_write_b32 v10, v7
.LBB14_333:
	s_or_b64 exec, exec, s[0:1]
	v_cmp_lt_u32_e32 vcc, 63, v2
	v_mov_b32_e32 v7, 0
	s_waitcnt lgkmcnt(0)
	s_barrier
	s_and_saveexec_b64 s[0:1], vcc
; %bb.334:
	v_lshl_add_u32 v7, v99, 2, -4
	ds_read_b32 v7, v7
; %bb.335:
	s_or_b64 exec, exec, s[0:1]
	v_add_u32_e32 v99, -1, v4
	v_and_b32_e32 v100, 64, v4
	v_cmp_lt_i32_e32 vcc, v99, v100
	s_waitcnt lgkmcnt(0)
	v_add_u32_e32 v98, v7, v98
	s_movk_i32 s0, 0x100
	v_cndmask_b32_e32 v99, v99, v4, vcc
	v_lshlrev_b32_e32 v99, 2, v99
	ds_bpermute_b32 v98, v99, v98
	v_cmp_eq_u32_e32 vcc, 0, v4
	s_waitcnt lgkmcnt(0)
	s_nop 0
	v_cndmask_b32_e32 v7, v98, v7, vcc
	v_cmp_ne_u32_e32 vcc, 0, v2
	s_nop 1
	v_cndmask_b32_e32 v7, 0, v7, vcc
	v_add_u32_e32 v8, v7, v8
	v_add_u32_e32 v9, v8, v9
	v_add_u32_e32 v0, v9, v0
	v_add_u32_e32 v1, v0, v1
	ds_write2_b32 v3, v7, v8 offset0:4 offset1:5
	ds_write2_b32 v3, v9, v0 offset0:6 offset1:7
	ds_write_b32 v3, v1 offset:32
	s_waitcnt lgkmcnt(0)
	s_barrier
	ds_read_b32 v8, v46 offset:16
	ds_read_b32 v9, v51 offset:16
	;; [unrolled: 1-line block ×23, first 2 shown]
	v_add_u32_e32 v3, 1, v2
	v_cmp_ne_u32_e32 vcc, s0, v3
	v_mov_b32_e32 v1, 0x1600
	s_and_saveexec_b64 s[0:1], vcc
; %bb.336:
	v_mul_u32_u24_e32 v1, 20, v3
	ds_read_b32 v1, v1 offset:16
; %bb.337:
	s_or_b64 exec, exec, s[0:1]
	s_waitcnt lgkmcnt(7)
	v_add_u32_e32 v25, v12, v14
	s_waitcnt lgkmcnt(6)
	v_add3_u32 v26, v18, v15, v16
	v_lshlrev_b32_e32 v3, 2, v25
	s_waitcnt lgkmcnt(5)
	v_add3_u32 v23, v23, v19, v20
	s_waitcnt lgkmcnt(0)
	s_barrier
	ds_write_b32 v3, v11 offset:2048
	v_lshlrev_b32_e32 v3, 2, v26
	v_add3_u32 v24, v28, v24, v31
	ds_write_b32 v3, v13 offset:2048
	v_lshlrev_b32_e32 v3, 2, v23
	v_add3_u32 v28, v33, v29, v30
	;; [unrolled: 3-line block ×19, first 2 shown]
	ds_write_b32 v3, v88 offset:2048
	v_lshlrev_b32_e32 v3, 2, v53
	v_sub_u32_e32 v8, v1, v0
	v_lshl_add_u32 v14, s2, 8, v2
	v_mov_b32_e32 v15, 0
	ds_write_b32 v3, v91 offset:2048
	v_lshlrev_b32_e32 v3, 2, v54
	v_lshl_add_u64 v[12:13], v[14:15], 2, s[90:91]
	v_or_b32_e32 v1, 2.0, v8
	v_mov_b32_e32 v7, v5
	ds_write_b32 v3, v94 offset:2048
	s_waitcnt lgkmcnt(0)
	s_barrier
	global_store_dword v[12:13], v1, off sc1
	s_mov_b64 s[0:1], 0
	s_brev_b32 s12, -4
	v_mov_b32_e32 v1, 0
                                        ; implicit-def: $sgpr4_sgpr5
	s_branch .LBB14_340
.LBB14_338:                             ;   in Loop: Header=BB14_340 Depth=1
	s_or_b64 exec, exec, s[10:11]
.LBB14_339:                             ;   in Loop: Header=BB14_340 Depth=1
	s_or_b64 exec, exec, s[4:5]
	v_and_b32_e32 v9, 0x3fffffff, v3
	v_add_u32_e32 v1, v9, v1
	v_cmp_gt_i32_e64 s[4:5], -2.0, v3
	s_and_b64 s[10:11], exec, s[4:5]
	s_or_b64 s[0:1], s[10:11], s[0:1]
	s_andn2_b64 exec, exec, s[0:1]
	s_cbranch_execz .LBB14_345
.LBB14_340:                             ; =>This Loop Header: Depth=1
                                        ;     Child Loop BB14_343 Depth 2
	s_or_b64 s[4:5], s[4:5], exec
	s_cmp_eq_u32 s3, 0
	s_cbranch_scc1 .LBB14_344
; %bb.341:                              ;   in Loop: Header=BB14_340 Depth=1
	s_add_i32 s3, s3, -1
	v_lshl_add_u32 v14, s3, 8, v2
	v_lshl_add_u64 v[16:17], v[14:15], 2, s[90:91]
	global_load_dword v3, v[16:17], off sc1
	s_waitcnt vmcnt(0)
	v_cmp_gt_u32_e32 vcc, 2.0, v3
	s_and_saveexec_b64 s[4:5], vcc
	s_cbranch_execz .LBB14_339
; %bb.342:                              ;   in Loop: Header=BB14_340 Depth=1
	s_mov_b64 s[10:11], 0
.LBB14_343:                             ;   Parent Loop BB14_340 Depth=1
                                        ; =>  This Inner Loop Header: Depth=2
	global_load_dword v3, v[16:17], off sc1
	s_waitcnt vmcnt(0)
	v_cmp_lt_u32_e32 vcc, s12, v3
	s_or_b64 s[10:11], vcc, s[10:11]
	s_andn2_b64 exec, exec, s[10:11]
	s_cbranch_execnz .LBB14_343
	s_branch .LBB14_338
.LBB14_344:                             ;   in Loop: Header=BB14_340 Depth=1
                                        ; implicit-def: $sgpr3
	s_and_b64 s[10:11], exec, s[4:5]
	s_or_b64 s[0:1], s[10:11], s[0:1]
	s_andn2_b64 exec, exec, s[0:1]
	s_cbranch_execnz .LBB14_340
.LBB14_345:
	s_or_b64 exec, exec, s[0:1]
	v_add_u32_e32 v3, v1, v8
	v_or_b32_e32 v3, 0x80000000, v3
	v_readlane_b32 s12, v104, 0
	v_lshlrev_b32_e32 v9, 3, v2
	global_store_dword v[12:13], v3, off sc1
	v_readlane_b32 s13, v104, 1
	v_sub_co_u32_e32 v14, vcc, v1, v0
	v_sub_u32_e32 v1, v9, v10
	s_nop 0
	v_subb_co_u32_e64 v15, s[0:1], 0, 0, vcc
	s_nop 0
	global_load_dwordx2 v[12:13], v9, s[12:13]
	v_mov_b32_e32 v3, 0
	v_mov_b32_e32 v11, v3
	v_or_b32_e32 v16, 0x1000, v10
	v_add_u32_e32 v18, 0x1400, v10
	v_add_u32_e32 v20, 0x1800, v10
	;; [unrolled: 1-line block ×3, first 2 shown]
	v_mov_b32_e32 v17, v3
	v_mov_b32_e32 v19, v3
	;; [unrolled: 1-line block ×4, first 2 shown]
	s_add_u32 s0, s96, s6
	s_addc_u32 s1, s97, 0
	v_lshl_add_u64 v[4:5], s[0:1], 0, v[4:5]
	v_lshl_add_u64 v[4:5], v[4:5], 0, v[6:7]
	s_add_i32 s7, s7, -1
	v_readlane_b32 s14, v104, 2
	v_readlane_b32 s15, v104, 3
	s_cmp_lg_u32 s2, s7
	s_waitcnt vmcnt(0)
	v_lshl_add_u64 v[12:13], v[14:15], 0, v[12:13]
	ds_write_b64 v9, v[12:13]
	s_waitcnt lgkmcnt(0)
	s_barrier
	ds_read2st64_b32 v[12:13], v1 offset0:8 offset1:12
	ds_read2st64_b32 v[14:15], v1 offset0:16 offset1:20
	;; [unrolled: 1-line block ×6, first 2 shown]
	s_waitcnt lgkmcnt(5)
	v_lshrrev_b32_e32 v22, s8, v12
	v_xor_b32_e32 v27, 0x7fffffff, v12
	v_lshrrev_b32_e32 v12, s8, v13
	v_xor_b32_e32 v32, 0x7fffffff, v13
	s_waitcnt lgkmcnt(4)
	v_lshrrev_b32_e32 v13, s8, v14
	v_xor_b32_e32 v41, 0x7fffffff, v14
	v_lshrrev_b32_e32 v14, s8, v15
	v_xor_b32_e32 v42, 0x7fffffff, v15
	;; [unrolled: 5-line block ×3, first 2 shown]
	s_waitcnt lgkmcnt(2)
	v_lshrrev_b32_e32 v52, s8, v58
	v_lshrrev_b32_e32 v56, s8, v59
	s_waitcnt lgkmcnt(1)
	v_lshrrev_b32_e32 v57, s8, v60
	v_and_b32_e32 v22, s9, v22
	v_and_b32_e32 v12, s9, v12
	;; [unrolled: 1-line block ×9, first 2 shown]
	v_lshlrev_b32_e32 v22, 3, v22
	v_xor_b32_e32 v55, 0x7fffffff, v58
	v_xor_b32_e32 v74, 0x7fffffff, v59
	v_lshlrev_b32_e32 v75, 3, v12
	v_lshlrev_b32_e32 v76, 3, v13
	;; [unrolled: 1-line block ×8, first 2 shown]
	ds_read_b64 v[12:13], v22
	ds_read_b64 v[14:15], v75
	;; [unrolled: 1-line block ×9, first 2 shown]
	s_waitcnt lgkmcnt(8)
	v_lshl_add_u64 v[12:13], v[12:13], 2, s[94:95]
	s_waitcnt lgkmcnt(7)
	v_lshl_add_u64 v[14:15], v[14:15], 2, s[94:95]
	;; [unrolled: 2-line block ×4, first 2 shown]
	v_lshl_add_u64 v[12:13], v[12:13], 0, v[10:11]
	v_lshl_add_u64 v[14:15], v[14:15], 0, v[10:11]
	;; [unrolled: 1-line block ×4, first 2 shown]
	v_lshrrev_b32_e32 v11, s8, v61
	s_waitcnt lgkmcnt(4)
	v_lshl_add_u64 v[64:65], v[64:65], 2, s[94:95]
	s_waitcnt lgkmcnt(3)
	v_lshl_add_u64 v[66:67], v[66:67], 2, s[94:95]
	;; [unrolled: 2-line block ×4, first 2 shown]
	v_and_b32_e32 v11, s9, v11
	v_lshl_add_u64 v[16:17], v[64:65], 0, v[16:17]
	v_lshl_add_u64 v[18:19], v[66:67], 0, v[18:19]
	;; [unrolled: 1-line block ×4, first 2 shown]
	global_store_dword v[12:13], v27, off
	global_store_dword v[14:15], v32, off offset:1024
	global_store_dword v[56:57], v41, off offset:2048
	;; [unrolled: 1-line block ×3, first 2 shown]
	global_store_dword v[16:17], v45, off
	global_store_dword v[18:19], v50, off
	global_store_dword v[20:21], v55, off
	global_store_dword v[36:37], v74, off
	v_lshlrev_b32_e32 v32, 3, v11
	v_lshrrev_b32_e32 v11, s8, v62
	v_and_b32_e32 v11, s9, v11
	v_lshlrev_b32_e32 v41, 3, v11
	v_lshrrev_b32_e32 v11, s8, v63
	v_and_b32_e32 v11, s9, v11
	v_lshlrev_b32_e32 v42, 3, v11
	ds_read_b64 v[12:13], v32
	ds_read_b64 v[14:15], v41
	;; [unrolled: 1-line block ×3, first 2 shown]
	s_waitcnt lgkmcnt(3)
	v_lshl_add_u64 v[18:19], v[72:73], 2, s[94:95]
	v_or_b32_e32 v20, 0x2000, v10
	v_mov_b32_e32 v21, v3
	v_xor_b32_e32 v60, 0x7fffffff, v60
	v_lshl_add_u64 v[18:19], v[18:19], 0, v[20:21]
	global_store_dword v[18:19], v60, off
	s_waitcnt lgkmcnt(2)
	v_lshl_add_u64 v[12:13], v[12:13], 2, s[94:95]
	v_add_u32_e32 v18, 0x2400, v10
	v_mov_b32_e32 v19, v3
	v_xor_b32_e32 v11, 0x7fffffff, v61
	v_lshl_add_u64 v[12:13], v[12:13], 0, v[18:19]
	global_store_dword v[12:13], v11, off
	s_waitcnt lgkmcnt(1)
	v_lshl_add_u64 v[12:13], v[14:15], 2, s[94:95]
	v_add_u32_e32 v14, 0x2800, v10
	v_mov_b32_e32 v15, v3
	v_lshl_add_u64 v[12:13], v[12:13], 0, v[14:15]
	ds_read2st64_b32 v[14:15], v1 offset0:56 offset1:60
	v_xor_b32_e32 v11, 0x7fffffff, v62
	global_store_dword v[12:13], v11, off
	s_waitcnt lgkmcnt(1)
	v_lshl_add_u64 v[12:13], v[16:17], 2, s[94:95]
	v_add_u32_e32 v16, 0x2c00, v10
	v_mov_b32_e32 v17, v3
	v_xor_b32_e32 v11, 0x7fffffff, v63
	v_lshl_add_u64 v[12:13], v[12:13], 0, v[16:17]
	global_store_dword v[12:13], v11, off
	s_waitcnt lgkmcnt(0)
	v_lshrrev_b32_e32 v11, s8, v14
	v_and_b32_e32 v11, s9, v11
	v_lshlrev_b32_e32 v45, 3, v11
	ds_read2st64_b32 v[12:13], v1 offset0:64 offset1:68
	ds_read_b64 v[16:17], v45
	v_lshrrev_b32_e32 v11, s8, v15
	v_and_b32_e32 v11, s9, v11
	v_lshlrev_b32_e32 v50, 3, v11
	s_waitcnt lgkmcnt(1)
	v_lshrrev_b32_e32 v11, s8, v12
	v_and_b32_e32 v11, s9, v11
	v_lshlrev_b32_e32 v55, 3, v11
	v_lshrrev_b32_e32 v11, s8, v13
	v_and_b32_e32 v11, s9, v11
	v_lshlrev_b32_e32 v60, 3, v11
	ds_read_b64 v[18:19], v50
	ds_read_b64 v[20:21], v55
	;; [unrolled: 1-line block ×3, first 2 shown]
	s_waitcnt lgkmcnt(3)
	v_lshl_add_u64 v[16:17], v[16:17], 2, s[94:95]
	v_or_b32_e32 v56, 0x3000, v10
	v_mov_b32_e32 v57, v3
	v_xor_b32_e32 v14, 0x7fffffff, v14
	v_lshl_add_u64 v[16:17], v[16:17], 0, v[56:57]
	global_store_dword v[16:17], v14, off
	v_xor_b32_e32 v11, 0x7fffffff, v15
	s_waitcnt lgkmcnt(2)
	v_lshl_add_u64 v[14:15], v[18:19], 2, s[94:95]
	v_add_u32_e32 v16, 0x3400, v10
	v_mov_b32_e32 v17, v3
	v_lshl_add_u64 v[14:15], v[14:15], 0, v[16:17]
	global_store_dword v[14:15], v11, off
	s_waitcnt lgkmcnt(1)
	v_lshl_add_u64 v[14:15], v[20:21], 2, s[94:95]
	v_add_u32_e32 v16, 0x3800, v10
	v_xor_b32_e32 v11, 0x7fffffff, v12
	v_lshl_add_u64 v[14:15], v[14:15], 0, v[16:17]
	global_store_dword v[14:15], v11, off
	ds_read2st64_b32 v[14:15], v1 offset0:72 offset1:76
	v_xor_b32_e32 v16, 0x7fffffff, v13
	s_waitcnt lgkmcnt(1)
	v_lshl_add_u64 v[12:13], v[36:37], 2, s[94:95]
	v_add_u32_e32 v10, 0x3c00, v10
	v_mov_b32_e32 v11, v3
	v_lshl_add_u64 v[10:11], v[12:13], 0, v[10:11]
	global_store_dword v[10:11], v16, off
	s_waitcnt lgkmcnt(0)
	v_lshrrev_b32_e32 v11, s8, v14
	v_and_b32_e32 v11, s9, v11
	v_lshlrev_b32_e32 v61, 3, v11
	ds_read2st64_b32 v[16:17], v1 offset0:80 offset1:84
	ds_read_b64 v[12:13], v61
	v_lshrrev_b32_e32 v11, s8, v15
	v_and_b32_e32 v11, s9, v11
	v_lshlrev_b32_e32 v62, 3, v11
	s_waitcnt lgkmcnt(1)
	v_lshrrev_b32_e32 v11, s8, v16
	v_and_b32_e32 v11, s9, v11
	v_lshlrev_b32_e32 v63, 3, v11
	v_lshrrev_b32_e32 v11, s8, v17
	v_or_b32_e32 v10, 0x1000, v2
	v_and_b32_e32 v11, s9, v11
	v_lshlrev_b32_e32 v64, 3, v11
	ds_read_b64 v[18:19], v62
	ds_read_b64 v[20:21], v63
	ds_read_b64 v[36:37], v64
	s_waitcnt lgkmcnt(3)
	v_lshl_add_u64 v[12:13], v[12:13], 2, s[94:95]
	v_lshlrev_b32_e32 v56, 2, v10
	v_xor_b32_e32 v14, 0x7fffffff, v14
	v_lshl_add_u64 v[12:13], v[12:13], 0, v[56:57]
	global_store_dword v[12:13], v14, off
	v_add_u32_e32 v12, 0x1100, v2
	v_xor_b32_e32 v11, 0x7fffffff, v15
	s_waitcnt lgkmcnt(2)
	v_lshl_add_u64 v[14:15], v[18:19], 2, s[94:95]
	v_lshlrev_b32_e32 v18, 2, v12
	v_mov_b32_e32 v19, v3
	v_lshl_add_u64 v[14:15], v[14:15], 0, v[18:19]
	global_store_dword v[14:15], v11, off
	v_add_u32_e32 v14, 0x1200, v2
	s_waitcnt lgkmcnt(1)
	v_lshl_add_u64 v[18:19], v[20:21], 2, s[94:95]
	v_lshlrev_b32_e32 v20, 2, v14
	v_mov_b32_e32 v21, v3
	v_xor_b32_e32 v11, 0x7fffffff, v16
	v_lshl_add_u64 v[18:19], v[18:19], 0, v[20:21]
	global_store_dword v[18:19], v11, off
	s_waitcnt lgkmcnt(0)
	v_lshl_add_u64 v[18:19], v[36:37], 2, s[94:95]
	ds_read2st64_b32 v[36:37], v1 offset0:88 offset1:92
	v_add_u32_e32 v16, 0x1300, v2
	v_lshlrev_b32_e32 v20, 2, v16
	v_lshl_add_u64 v[18:19], v[18:19], 0, v[20:21]
	v_xor_b32_e32 v11, 0x7fffffff, v17
	s_waitcnt lgkmcnt(0)
	v_lshrrev_b32_e32 v1, s8, v36
	v_and_b32_e32 v1, s9, v1
	v_lshlrev_b32_e32 v27, 3, v1
	ds_read_b64 v[20:21], v27
	v_lshrrev_b32_e32 v1, s8, v37
	v_and_b32_e32 v1, s9, v1
	v_lshlrev_b32_e32 v65, 3, v1
	ds_read_b64 v[56:57], v65
	global_store_dword v[18:19], v11, off
	v_or_b32_e32 v18, 0x1400, v2
	s_waitcnt lgkmcnt(1)
	v_lshl_add_u64 v[20:21], v[20:21], 2, s[94:95]
	v_lshlrev_b32_e32 v58, 2, v18
	v_mov_b32_e32 v59, v3
	v_xor_b32_e32 v11, 0x7fffffff, v36
	v_lshl_add_u64 v[20:21], v[20:21], 0, v[58:59]
	global_store_dword v[20:21], v11, off
	v_add_u32_e32 v20, 0x1500, v2
	v_xor_b32_e32 v1, 0x7fffffff, v37
	s_waitcnt lgkmcnt(0)
	v_lshl_add_u64 v[36:37], v[56:57], 2, s[94:95]
	v_lshlrev_b32_e32 v56, 2, v20
	v_mov_b32_e32 v57, v3
	v_lshl_add_u64 v[36:37], v[36:37], 0, v[56:57]
	global_store_dword v[36:37], v1, off
	global_load_ubyte v6, v[4:5], off
	global_load_ubyte v7, v[4:5], off offset:64
	s_nop 0
	global_load_ubyte v36, v[4:5], off offset:128
	global_load_ubyte v37, v[4:5], off offset:192
	;; [unrolled: 1-line block ×20, first 2 shown]
	s_barrier
	s_waitcnt vmcnt(21)
	ds_write_b8 v25, v6 offset:2048
	s_waitcnt vmcnt(20)
	ds_write_b8 v26, v7 offset:2048
	;; [unrolled: 2-line block ×22, first 2 shown]
	s_waitcnt lgkmcnt(0)
	s_barrier
	ds_read_b64 v[4:5], v22
	ds_read_u8 v30, v2 offset:2048
	ds_read_b64 v[6:7], v75
	ds_read_b64 v[22:23], v76
	;; [unrolled: 1-line block ×3, first 2 shown]
	s_waitcnt lgkmcnt(4)
	v_lshl_add_u64 v[4:5], s[98:99], 0, v[4:5]
	v_lshl_add_u64 v[4:5], v[4:5], 0, v[2:3]
	ds_read_u8 v31, v2 offset:2304
	ds_read_b64 v[26:27], v27
	ds_read_b64 v[28:29], v65
	s_waitcnt lgkmcnt(6)
	global_store_byte v[4:5], v30, off
	s_waitcnt lgkmcnt(5)
	v_lshl_add_u64 v[4:5], s[98:99], 0, v[6:7]
	v_lshl_add_u64 v[4:5], v[4:5], 0, v[2:3]
	s_waitcnt lgkmcnt(2)
	global_store_byte v[4:5], v31, off offset:256
	v_lshl_add_u64 v[4:5], s[98:99], 0, v[22:23]
	v_lshl_add_u64 v[4:5], v[4:5], 0, v[2:3]
	ds_read_u8 v6, v2 offset:2560
	ds_read_u8 v22, v2 offset:2816
	;; [unrolled: 1-line block ×8, first 2 shown]
	s_waitcnt lgkmcnt(7)
	global_store_byte v[4:5], v6, off offset:512
	v_lshl_add_u64 v[4:5], s[98:99], 0, v[24:25]
	v_lshl_add_u64 v[4:5], v[4:5], 0, v[2:3]
	ds_read_b64 v[6:7], v78
	s_waitcnt lgkmcnt(7)
	global_store_byte v[4:5], v22, off offset:768
	ds_read_b64 v[4:5], v47
	ds_read_b64 v[22:23], v52
	;; [unrolled: 1-line block ×3, first 2 shown]
	v_mov_b32_e32 v11, v3
	v_mov_b32_e32 v13, v3
	s_waitcnt lgkmcnt(3)
	v_lshl_add_u64 v[6:7], s[98:99], 0, v[6:7]
	s_waitcnt lgkmcnt(2)
	v_lshl_add_u64 v[4:5], s[98:99], 0, v[4:5]
	v_lshl_add_u64 v[6:7], v[6:7], 0, v[2:3]
	;; [unrolled: 1-line block ×3, first 2 shown]
	global_store_byte v[6:7], v30, off offset:1024
	global_store_byte v[4:5], v31, off offset:1280
	s_waitcnt lgkmcnt(1)
	v_lshl_add_u64 v[4:5], s[98:99], 0, v[22:23]
	v_lshl_add_u64 v[4:5], v[4:5], 0, v[2:3]
	global_store_byte v[4:5], v33, off offset:1536
	s_waitcnt lgkmcnt(0)
	v_lshl_add_u64 v[4:5], s[98:99], 0, v[24:25]
	v_lshl_add_u64 v[4:5], v[4:5], 0, v[2:3]
	ds_read_b64 v[6:7], v80
	global_store_byte v[4:5], v34, off offset:1792
	ds_read_b64 v[4:5], v32
	ds_read_b64 v[22:23], v41
	;; [unrolled: 1-line block ×3, first 2 shown]
	v_mov_b32_e32 v15, v3
	v_mov_b32_e32 v17, v3
	s_waitcnt lgkmcnt(3)
	v_lshl_add_u64 v[6:7], s[98:99], 0, v[6:7]
	s_waitcnt lgkmcnt(2)
	v_lshl_add_u64 v[4:5], s[98:99], 0, v[4:5]
	v_lshl_add_u64 v[6:7], v[6:7], 0, v[2:3]
	;; [unrolled: 1-line block ×3, first 2 shown]
	global_store_byte v[6:7], v35, off offset:2048
	global_store_byte v[4:5], v36, off offset:2304
	s_waitcnt lgkmcnt(1)
	v_lshl_add_u64 v[4:5], s[98:99], 0, v[22:23]
	v_lshl_add_u64 v[4:5], v[4:5], 0, v[2:3]
	ds_read_u8 v6, v2 offset:4608
	ds_read_u8 v22, v2 offset:4864
	;; [unrolled: 1-line block ×8, first 2 shown]
	s_waitcnt lgkmcnt(7)
	global_store_byte v[4:5], v6, off offset:2560
	v_lshl_add_u64 v[4:5], s[98:99], 0, v[24:25]
	v_lshl_add_u64 v[4:5], v[4:5], 0, v[2:3]
	ds_read_b64 v[6:7], v45
	s_waitcnt lgkmcnt(7)
	global_store_byte v[4:5], v22, off offset:2816
	ds_read_b64 v[4:5], v50
	ds_read_b64 v[22:23], v55
	;; [unrolled: 1-line block ×3, first 2 shown]
	v_mov_b32_e32 v19, v3
	v_mov_b32_e32 v21, v3
	s_waitcnt lgkmcnt(3)
	v_lshl_add_u64 v[6:7], s[98:99], 0, v[6:7]
	s_waitcnt lgkmcnt(2)
	v_lshl_add_u64 v[4:5], s[98:99], 0, v[4:5]
	v_lshl_add_u64 v[6:7], v[6:7], 0, v[2:3]
	v_lshl_add_u64 v[4:5], v[4:5], 0, v[2:3]
	global_store_byte v[6:7], v30, off offset:3072
	global_store_byte v[4:5], v31, off offset:3328
	s_waitcnt lgkmcnt(1)
	v_lshl_add_u64 v[4:5], s[98:99], 0, v[22:23]
	ds_read_b64 v[6:7], v61
	v_lshl_add_u64 v[4:5], v[4:5], 0, v[2:3]
	global_store_byte v[4:5], v32, off offset:3584
	s_waitcnt lgkmcnt(1)
	v_lshl_add_u64 v[4:5], s[98:99], 0, v[24:25]
	v_lshl_add_u64 v[4:5], v[4:5], 0, v[2:3]
	global_store_byte v[4:5], v33, off offset:3840
	ds_read_b64 v[4:5], v62
	ds_read_b64 v[22:23], v63
	;; [unrolled: 1-line block ×3, first 2 shown]
	s_waitcnt lgkmcnt(3)
	v_lshl_add_u64 v[6:7], s[98:99], 0, v[6:7]
	v_lshl_add_u64 v[6:7], v[6:7], 0, v[10:11]
	global_store_byte v[6:7], v34, off
	ds_read_u8 v6, v2 offset:6656
	s_waitcnt lgkmcnt(3)
	v_lshl_add_u64 v[4:5], s[98:99], 0, v[4:5]
	v_lshl_add_u64 v[4:5], v[4:5], 0, v[12:13]
	global_store_byte v[4:5], v35, off
	s_waitcnt lgkmcnt(2)
	v_lshl_add_u64 v[4:5], s[98:99], 0, v[22:23]
	v_lshl_add_u64 v[4:5], v[4:5], 0, v[14:15]
	ds_read_u8 v7, v2 offset:6912
	ds_read_u8 v10, v2 offset:7168
	;; [unrolled: 1-line block ×3, first 2 shown]
	s_waitcnt lgkmcnt(3)
	global_store_byte v[4:5], v6, off
	v_lshl_add_u64 v[4:5], s[98:99], 0, v[24:25]
	v_lshl_add_u64 v[4:5], v[4:5], 0, v[16:17]
	s_waitcnt lgkmcnt(2)
	global_store_byte v[4:5], v7, off
	v_lshl_add_u64 v[4:5], s[98:99], 0, v[26:27]
	v_lshl_add_u64 v[4:5], v[4:5], 0, v[18:19]
	;; [unrolled: 4-line block ×3, first 2 shown]
	s_waitcnt lgkmcnt(0)
	global_store_byte v[4:5], v11, off
	s_cbranch_scc1 .LBB14_347
; %bb.346:
	ds_read_b64 v[4:5], v9
	v_mov_b32_e32 v1, v3
	v_mov_b32_e32 v9, v3
	v_lshl_add_u64 v[0:1], v[8:9], 0, v[0:1]
	v_lshlrev_b32_e32 v2, 3, v2
	s_waitcnt lgkmcnt(0)
	v_lshl_add_u64 v[0:1], v[0:1], 0, v[4:5]
	global_store_dwordx2 v2, v[0:1], s[14:15]
.LBB14_347:
	s_endpgm
	.section	.rodata,"a",@progbits
	.p2align	6, 0x0
	.amdhsa_kernel _ZN7rocprim17ROCPRIM_304000_NS6detail25onesweep_iteration_kernelINS1_34wrapped_radix_sort_onesweep_configINS0_14default_configEiN2at4cuda3cub6detail10OpaqueTypeILi1EEEEELb1EPKiPiPKSA_PSA_mNS0_19identity_decomposerEEEvT1_T2_T3_T4_jPT5_SO_PNS1_23onesweep_lookback_stateET6_jjj
		.amdhsa_group_segment_fixed_size 24576
		.amdhsa_private_segment_fixed_size 0
		.amdhsa_kernarg_size 336
		.amdhsa_user_sgpr_count 2
		.amdhsa_user_sgpr_dispatch_ptr 0
		.amdhsa_user_sgpr_queue_ptr 0
		.amdhsa_user_sgpr_kernarg_segment_ptr 1
		.amdhsa_user_sgpr_dispatch_id 0
		.amdhsa_user_sgpr_kernarg_preload_length 0
		.amdhsa_user_sgpr_kernarg_preload_offset 0
		.amdhsa_user_sgpr_private_segment_size 0
		.amdhsa_uses_dynamic_stack 0
		.amdhsa_enable_private_segment 0
		.amdhsa_system_sgpr_workgroup_id_x 1
		.amdhsa_system_sgpr_workgroup_id_y 0
		.amdhsa_system_sgpr_workgroup_id_z 0
		.amdhsa_system_sgpr_workgroup_info 0
		.amdhsa_system_vgpr_workitem_id 2
		.amdhsa_next_free_vgpr 105
		.amdhsa_next_free_sgpr 100
		.amdhsa_accum_offset 108
		.amdhsa_reserve_vcc 1
		.amdhsa_float_round_mode_32 0
		.amdhsa_float_round_mode_16_64 0
		.amdhsa_float_denorm_mode_32 3
		.amdhsa_float_denorm_mode_16_64 3
		.amdhsa_dx10_clamp 1
		.amdhsa_ieee_mode 1
		.amdhsa_fp16_overflow 0
		.amdhsa_tg_split 0
		.amdhsa_exception_fp_ieee_invalid_op 0
		.amdhsa_exception_fp_denorm_src 0
		.amdhsa_exception_fp_ieee_div_zero 0
		.amdhsa_exception_fp_ieee_overflow 0
		.amdhsa_exception_fp_ieee_underflow 0
		.amdhsa_exception_fp_ieee_inexact 0
		.amdhsa_exception_int_div_zero 0
	.end_amdhsa_kernel
	.section	.text._ZN7rocprim17ROCPRIM_304000_NS6detail25onesweep_iteration_kernelINS1_34wrapped_radix_sort_onesweep_configINS0_14default_configEiN2at4cuda3cub6detail10OpaqueTypeILi1EEEEELb1EPKiPiPKSA_PSA_mNS0_19identity_decomposerEEEvT1_T2_T3_T4_jPT5_SO_PNS1_23onesweep_lookback_stateET6_jjj,"axG",@progbits,_ZN7rocprim17ROCPRIM_304000_NS6detail25onesweep_iteration_kernelINS1_34wrapped_radix_sort_onesweep_configINS0_14default_configEiN2at4cuda3cub6detail10OpaqueTypeILi1EEEEELb1EPKiPiPKSA_PSA_mNS0_19identity_decomposerEEEvT1_T2_T3_T4_jPT5_SO_PNS1_23onesweep_lookback_stateET6_jjj,comdat
.Lfunc_end14:
	.size	_ZN7rocprim17ROCPRIM_304000_NS6detail25onesweep_iteration_kernelINS1_34wrapped_radix_sort_onesweep_configINS0_14default_configEiN2at4cuda3cub6detail10OpaqueTypeILi1EEEEELb1EPKiPiPKSA_PSA_mNS0_19identity_decomposerEEEvT1_T2_T3_T4_jPT5_SO_PNS1_23onesweep_lookback_stateET6_jjj, .Lfunc_end14-_ZN7rocprim17ROCPRIM_304000_NS6detail25onesweep_iteration_kernelINS1_34wrapped_radix_sort_onesweep_configINS0_14default_configEiN2at4cuda3cub6detail10OpaqueTypeILi1EEEEELb1EPKiPiPKSA_PSA_mNS0_19identity_decomposerEEEvT1_T2_T3_T4_jPT5_SO_PNS1_23onesweep_lookback_stateET6_jjj
                                        ; -- End function
	.set _ZN7rocprim17ROCPRIM_304000_NS6detail25onesweep_iteration_kernelINS1_34wrapped_radix_sort_onesweep_configINS0_14default_configEiN2at4cuda3cub6detail10OpaqueTypeILi1EEEEELb1EPKiPiPKSA_PSA_mNS0_19identity_decomposerEEEvT1_T2_T3_T4_jPT5_SO_PNS1_23onesweep_lookback_stateET6_jjj.num_vgpr, 105
	.set _ZN7rocprim17ROCPRIM_304000_NS6detail25onesweep_iteration_kernelINS1_34wrapped_radix_sort_onesweep_configINS0_14default_configEiN2at4cuda3cub6detail10OpaqueTypeILi1EEEEELb1EPKiPiPKSA_PSA_mNS0_19identity_decomposerEEEvT1_T2_T3_T4_jPT5_SO_PNS1_23onesweep_lookback_stateET6_jjj.num_agpr, 0
	.set _ZN7rocprim17ROCPRIM_304000_NS6detail25onesweep_iteration_kernelINS1_34wrapped_radix_sort_onesweep_configINS0_14default_configEiN2at4cuda3cub6detail10OpaqueTypeILi1EEEEELb1EPKiPiPKSA_PSA_mNS0_19identity_decomposerEEEvT1_T2_T3_T4_jPT5_SO_PNS1_23onesweep_lookback_stateET6_jjj.numbered_sgpr, 100
	.set _ZN7rocprim17ROCPRIM_304000_NS6detail25onesweep_iteration_kernelINS1_34wrapped_radix_sort_onesweep_configINS0_14default_configEiN2at4cuda3cub6detail10OpaqueTypeILi1EEEEELb1EPKiPiPKSA_PSA_mNS0_19identity_decomposerEEEvT1_T2_T3_T4_jPT5_SO_PNS1_23onesweep_lookback_stateET6_jjj.num_named_barrier, 0
	.set _ZN7rocprim17ROCPRIM_304000_NS6detail25onesweep_iteration_kernelINS1_34wrapped_radix_sort_onesweep_configINS0_14default_configEiN2at4cuda3cub6detail10OpaqueTypeILi1EEEEELb1EPKiPiPKSA_PSA_mNS0_19identity_decomposerEEEvT1_T2_T3_T4_jPT5_SO_PNS1_23onesweep_lookback_stateET6_jjj.private_seg_size, 0
	.set _ZN7rocprim17ROCPRIM_304000_NS6detail25onesweep_iteration_kernelINS1_34wrapped_radix_sort_onesweep_configINS0_14default_configEiN2at4cuda3cub6detail10OpaqueTypeILi1EEEEELb1EPKiPiPKSA_PSA_mNS0_19identity_decomposerEEEvT1_T2_T3_T4_jPT5_SO_PNS1_23onesweep_lookback_stateET6_jjj.uses_vcc, 1
	.set _ZN7rocprim17ROCPRIM_304000_NS6detail25onesweep_iteration_kernelINS1_34wrapped_radix_sort_onesweep_configINS0_14default_configEiN2at4cuda3cub6detail10OpaqueTypeILi1EEEEELb1EPKiPiPKSA_PSA_mNS0_19identity_decomposerEEEvT1_T2_T3_T4_jPT5_SO_PNS1_23onesweep_lookback_stateET6_jjj.uses_flat_scratch, 0
	.set _ZN7rocprim17ROCPRIM_304000_NS6detail25onesweep_iteration_kernelINS1_34wrapped_radix_sort_onesweep_configINS0_14default_configEiN2at4cuda3cub6detail10OpaqueTypeILi1EEEEELb1EPKiPiPKSA_PSA_mNS0_19identity_decomposerEEEvT1_T2_T3_T4_jPT5_SO_PNS1_23onesweep_lookback_stateET6_jjj.has_dyn_sized_stack, 0
	.set _ZN7rocprim17ROCPRIM_304000_NS6detail25onesweep_iteration_kernelINS1_34wrapped_radix_sort_onesweep_configINS0_14default_configEiN2at4cuda3cub6detail10OpaqueTypeILi1EEEEELb1EPKiPiPKSA_PSA_mNS0_19identity_decomposerEEEvT1_T2_T3_T4_jPT5_SO_PNS1_23onesweep_lookback_stateET6_jjj.has_recursion, 0
	.set _ZN7rocprim17ROCPRIM_304000_NS6detail25onesweep_iteration_kernelINS1_34wrapped_radix_sort_onesweep_configINS0_14default_configEiN2at4cuda3cub6detail10OpaqueTypeILi1EEEEELb1EPKiPiPKSA_PSA_mNS0_19identity_decomposerEEEvT1_T2_T3_T4_jPT5_SO_PNS1_23onesweep_lookback_stateET6_jjj.has_indirect_call, 0
	.section	.AMDGPU.csdata,"",@progbits
; Kernel info:
; codeLenInByte = 32128
; TotalNumSgprs: 106
; NumVgprs: 105
; NumAgprs: 0
; TotalNumVgprs: 105
; ScratchSize: 0
; MemoryBound: 0
; FloatMode: 240
; IeeeMode: 1
; LDSByteSize: 24576 bytes/workgroup (compile time only)
; SGPRBlocks: 13
; VGPRBlocks: 13
; NumSGPRsForWavesPerEU: 106
; NumVGPRsForWavesPerEU: 105
; AccumOffset: 108
; Occupancy: 4
; WaveLimiterHint : 1
; COMPUTE_PGM_RSRC2:SCRATCH_EN: 0
; COMPUTE_PGM_RSRC2:USER_SGPR: 2
; COMPUTE_PGM_RSRC2:TRAP_HANDLER: 0
; COMPUTE_PGM_RSRC2:TGID_X_EN: 1
; COMPUTE_PGM_RSRC2:TGID_Y_EN: 0
; COMPUTE_PGM_RSRC2:TGID_Z_EN: 0
; COMPUTE_PGM_RSRC2:TIDIG_COMP_CNT: 2
; COMPUTE_PGM_RSRC3_GFX90A:ACCUM_OFFSET: 26
; COMPUTE_PGM_RSRC3_GFX90A:TG_SPLIT: 0
	.section	.text._ZN7rocprim17ROCPRIM_304000_NS6detail25onesweep_iteration_kernelINS1_34wrapped_radix_sort_onesweep_configINS0_14default_configEiN2at4cuda3cub6detail10OpaqueTypeILi1EEEEELb1EPiSC_PSA_SD_mNS0_19identity_decomposerEEEvT1_T2_T3_T4_jPT5_SK_PNS1_23onesweep_lookback_stateET6_jjj,"axG",@progbits,_ZN7rocprim17ROCPRIM_304000_NS6detail25onesweep_iteration_kernelINS1_34wrapped_radix_sort_onesweep_configINS0_14default_configEiN2at4cuda3cub6detail10OpaqueTypeILi1EEEEELb1EPiSC_PSA_SD_mNS0_19identity_decomposerEEEvT1_T2_T3_T4_jPT5_SK_PNS1_23onesweep_lookback_stateET6_jjj,comdat
	.protected	_ZN7rocprim17ROCPRIM_304000_NS6detail25onesweep_iteration_kernelINS1_34wrapped_radix_sort_onesweep_configINS0_14default_configEiN2at4cuda3cub6detail10OpaqueTypeILi1EEEEELb1EPiSC_PSA_SD_mNS0_19identity_decomposerEEEvT1_T2_T3_T4_jPT5_SK_PNS1_23onesweep_lookback_stateET6_jjj ; -- Begin function _ZN7rocprim17ROCPRIM_304000_NS6detail25onesweep_iteration_kernelINS1_34wrapped_radix_sort_onesweep_configINS0_14default_configEiN2at4cuda3cub6detail10OpaqueTypeILi1EEEEELb1EPiSC_PSA_SD_mNS0_19identity_decomposerEEEvT1_T2_T3_T4_jPT5_SK_PNS1_23onesweep_lookback_stateET6_jjj
	.globl	_ZN7rocprim17ROCPRIM_304000_NS6detail25onesweep_iteration_kernelINS1_34wrapped_radix_sort_onesweep_configINS0_14default_configEiN2at4cuda3cub6detail10OpaqueTypeILi1EEEEELb1EPiSC_PSA_SD_mNS0_19identity_decomposerEEEvT1_T2_T3_T4_jPT5_SK_PNS1_23onesweep_lookback_stateET6_jjj
	.p2align	8
	.type	_ZN7rocprim17ROCPRIM_304000_NS6detail25onesweep_iteration_kernelINS1_34wrapped_radix_sort_onesweep_configINS0_14default_configEiN2at4cuda3cub6detail10OpaqueTypeILi1EEEEELb1EPiSC_PSA_SD_mNS0_19identity_decomposerEEEvT1_T2_T3_T4_jPT5_SK_PNS1_23onesweep_lookback_stateET6_jjj,@function
_ZN7rocprim17ROCPRIM_304000_NS6detail25onesweep_iteration_kernelINS1_34wrapped_radix_sort_onesweep_configINS0_14default_configEiN2at4cuda3cub6detail10OpaqueTypeILi1EEEEELb1EPiSC_PSA_SD_mNS0_19identity_decomposerEEEvT1_T2_T3_T4_jPT5_SK_PNS1_23onesweep_lookback_stateET6_jjj: ; @_ZN7rocprim17ROCPRIM_304000_NS6detail25onesweep_iteration_kernelINS1_34wrapped_radix_sort_onesweep_configINS0_14default_configEiN2at4cuda3cub6detail10OpaqueTypeILi1EEEEELb1EPiSC_PSA_SD_mNS0_19identity_decomposerEEEvT1_T2_T3_T4_jPT5_SK_PNS1_23onesweep_lookback_stateET6_jjj
; %bb.0:
	s_load_dwordx8 s[92:99], s[0:1], 0x0
	s_load_dwordx4 s[8:11], s[0:1], 0x44
	s_load_dwordx4 s[4:7], s[0:1], 0x28
                                        ; implicit-def: $vgpr104 : SGPR spill to VGPR lane
	s_load_dwordx2 s[90:91], s[0:1], 0x38
	s_mov_b32 s3, s2
	v_mbcnt_lo_u32_b32 v1, -1, 0
	s_waitcnt lgkmcnt(0)
	s_cmp_ge_u32 s2, s10
	v_writelane_b32 v104, s4, 0
	s_nop 1
	v_writelane_b32 v104, s5, 1
	v_writelane_b32 v104, s6, 2
	;; [unrolled: 1-line block ×3, first 2 shown]
	s_mov_b64 s[4:5], -1
	s_mul_i32 s6, s2, 0x1600
	s_cbranch_scc0 .LBB15_284
; %bb.1:
	s_load_dword s11, s[0:1], 0x20
	s_mulk_i32 s10, 0xea00
	s_mov_b32 s7, 0
	s_lshl_b64 s[4:5], s[6:7], 2
	v_mbcnt_hi_u32_b32 v4, -1, v1
	s_waitcnt lgkmcnt(0)
	s_add_i32 s7, s10, s11
	s_add_u32 s4, s92, s4
	v_and_b32_e32 v7, 0xc0, v0
	v_mov_b32_e32 v5, 0
	s_addc_u32 s5, s93, s5
	v_mul_u32_u24_e32 v6, 22, v7
	v_lshlrev_b32_e32 v8, 2, v4
	v_mov_b32_e32 v9, v5
	v_lshl_add_u64 v[8:9], s[4:5], 0, v[8:9]
	v_lshlrev_b32_e32 v10, 2, v6
	v_mov_b32_e32 v11, v5
	v_mov_b32_e32 v3, -1
	v_lshl_add_u64 v[8:9], v[8:9], 0, v[10:11]
	v_or_b32_e32 v10, v4, v6
	v_mov_b32_e32 v12, -1
	v_cmp_gt_u32_e64 s[10:11], s7, v10
	s_mov_b64 s[4:5], exec
	s_nop 0
	v_writelane_b32 v104, s10, 4
	s_nop 1
	v_writelane_b32 v104, s11, 5
	s_and_b64 s[10:11], s[4:5], s[10:11]
	s_mov_b64 exec, s[10:11]
	s_cbranch_execz .LBB15_3
; %bb.2:
	global_load_dword v2, v[8:9], off
	s_waitcnt vmcnt(0)
	v_xor_b32_e32 v12, 0x7fffffff, v2
.LBB15_3:
	s_or_b64 exec, exec, s[4:5]
	v_add_u32_e32 v2, 64, v10
	v_cmp_gt_u32_e64 s[10:11], s7, v2
	s_mov_b64 s[4:5], exec
	s_nop 0
	v_writelane_b32 v104, s10, 6
	s_nop 1
	v_writelane_b32 v104, s11, 7
	s_and_b64 s[10:11], s[4:5], s[10:11]
	s_mov_b64 exec, s[10:11]
	s_cbranch_execz .LBB15_5
; %bb.4:
	global_load_dword v2, v[8:9], off offset:256
	s_waitcnt vmcnt(0)
	v_xor_b32_e32 v3, 0x7fffffff, v2
.LBB15_5:
	s_or_b64 exec, exec, s[4:5]
	v_add_u32_e32 v2, 0x80, v10
	v_mov_b32_e32 v13, -1
	v_mov_b32_e32 v14, -1
	v_cmp_gt_u32_e64 s[10:11], s7, v2
	s_mov_b64 s[4:5], exec
	s_nop 0
	v_writelane_b32 v104, s10, 8
	s_nop 1
	v_writelane_b32 v104, s11, 9
	s_and_b64 s[10:11], s[4:5], s[10:11]
	s_mov_b64 exec, s[10:11]
	s_cbranch_execz .LBB15_7
; %bb.6:
	global_load_dword v2, v[8:9], off offset:512
	s_waitcnt vmcnt(0)
	v_xor_b32_e32 v14, 0x7fffffff, v2
.LBB15_7:
	s_or_b64 exec, exec, s[4:5]
	v_add_u32_e32 v2, 0xc0, v10
	v_cmp_gt_u32_e64 s[10:11], s7, v2
	s_mov_b64 s[4:5], exec
	s_nop 0
	v_writelane_b32 v104, s10, 10
	s_nop 1
	v_writelane_b32 v104, s11, 11
	s_and_b64 s[10:11], s[4:5], s[10:11]
	s_mov_b64 exec, s[10:11]
	s_cbranch_execz .LBB15_9
; %bb.8:
	global_load_dword v2, v[8:9], off offset:768
	s_waitcnt vmcnt(0)
	v_xor_b32_e32 v13, 0x7fffffff, v2
.LBB15_9:
	s_or_b64 exec, exec, s[4:5]
	v_add_u32_e32 v2, 0x100, v10
	v_cmp_gt_u32_e64 s[4:5], s7, v2
	v_mov_b32_e32 v15, -1
	v_mov_b32_e32 v16, -1
	v_writelane_b32 v104, s4, 12
	s_nop 1
	v_writelane_b32 v104, s5, 13
	s_and_saveexec_b64 s[10:11], s[4:5]
	s_cbranch_execz .LBB15_11
; %bb.10:
	global_load_dword v2, v[8:9], off offset:1024
	s_waitcnt vmcnt(0)
	v_xor_b32_e32 v16, 0x7fffffff, v2
.LBB15_11:
	s_or_b64 exec, exec, s[10:11]
	v_add_u32_e32 v2, 0x140, v10
	v_cmp_gt_u32_e64 s[4:5], s7, v2
	s_nop 1
	v_writelane_b32 v104, s4, 14
	s_nop 1
	v_writelane_b32 v104, s5, 15
	s_and_saveexec_b64 s[10:11], s[4:5]
	s_cbranch_execz .LBB15_13
; %bb.12:
	global_load_dword v2, v[8:9], off offset:1280
	s_waitcnt vmcnt(0)
	v_xor_b32_e32 v15, 0x7fffffff, v2
.LBB15_13:
	s_or_b64 exec, exec, s[10:11]
	v_add_u32_e32 v2, 0x180, v10
	v_cmp_gt_u32_e64 s[14:15], s7, v2
	v_mov_b32_e32 v17, -1
	v_mov_b32_e32 v18, -1
	s_and_saveexec_b64 s[10:11], s[14:15]
	s_cbranch_execz .LBB15_15
; %bb.14:
	global_load_dword v2, v[8:9], off offset:1536
	s_waitcnt vmcnt(0)
	v_xor_b32_e32 v18, 0x7fffffff, v2
.LBB15_15:
	s_or_b64 exec, exec, s[10:11]
	v_add_u32_e32 v2, 0x1c0, v10
	v_cmp_gt_u32_e64 s[16:17], s7, v2
	s_and_saveexec_b64 s[10:11], s[16:17]
	s_cbranch_execz .LBB15_17
; %bb.16:
	global_load_dword v2, v[8:9], off offset:1792
	s_waitcnt vmcnt(0)
	v_xor_b32_e32 v17, 0x7fffffff, v2
.LBB15_17:
	s_or_b64 exec, exec, s[10:11]
	v_add_u32_e32 v2, 0x200, v10
	v_cmp_gt_u32_e64 s[18:19], s7, v2
	v_mov_b32_e32 v19, -1
	v_mov_b32_e32 v20, -1
	s_and_saveexec_b64 s[10:11], s[18:19]
	s_cbranch_execz .LBB15_19
; %bb.18:
	global_load_dword v2, v[8:9], off offset:2048
	s_waitcnt vmcnt(0)
	v_xor_b32_e32 v20, 0x7fffffff, v2
.LBB15_19:
	s_or_b64 exec, exec, s[10:11]
	v_add_u32_e32 v2, 0x240, v10
	v_cmp_gt_u32_e64 s[20:21], s7, v2
	;; [unrolled: 22-line block ×5, first 2 shown]
	s_and_saveexec_b64 s[10:11], s[34:35]
	s_cbranch_execz .LBB15_33
; %bb.32:
	global_load_dword v2, v[8:9], off offset:3840
	s_waitcnt vmcnt(0)
	v_xor_b32_e32 v25, 0x7fffffff, v2
.LBB15_33:
	s_or_b64 exec, exec, s[10:11]
	v_add_u32_e32 v2, 0x400, v10
	v_cmp_gt_u32_e64 s[36:37], s7, v2
	v_mov_b32_e32 v27, -1
	v_mov_b32_e32 v28, -1
	s_and_saveexec_b64 s[10:11], s[36:37]
	s_cbranch_execz .LBB15_35
; %bb.34:
	v_add_co_u32_e32 v28, vcc, 0x1000, v8
	s_nop 1
	v_addc_co_u32_e32 v29, vcc, 0, v9, vcc
	global_load_dword v2, v[28:29], off
	s_waitcnt vmcnt(0)
	v_xor_b32_e32 v28, 0x7fffffff, v2
.LBB15_35:
	s_or_b64 exec, exec, s[10:11]
	v_add_u32_e32 v2, 0x440, v10
	v_cmp_gt_u32_e64 s[38:39], s7, v2
	s_and_saveexec_b64 s[10:11], s[38:39]
	s_cbranch_execz .LBB15_37
; %bb.36:
	v_add_co_u32_e32 v30, vcc, 0x1000, v8
	s_nop 1
	v_addc_co_u32_e32 v31, vcc, 0, v9, vcc
	global_load_dword v2, v[30:31], off offset:256
	s_waitcnt vmcnt(0)
	v_xor_b32_e32 v27, 0x7fffffff, v2
.LBB15_37:
	s_or_b64 exec, exec, s[10:11]
	v_add_u32_e32 v2, 0x480, v10
	v_cmp_gt_u32_e64 s[40:41], s7, v2
	v_mov_b32_e32 v29, -1
	v_mov_b32_e32 v30, -1
	s_and_saveexec_b64 s[10:11], s[40:41]
	s_cbranch_execz .LBB15_39
; %bb.38:
	v_add_co_u32_e32 v30, vcc, 0x1000, v8
	s_nop 1
	v_addc_co_u32_e32 v31, vcc, 0, v9, vcc
	global_load_dword v2, v[30:31], off offset:512
	s_waitcnt vmcnt(0)
	v_xor_b32_e32 v30, 0x7fffffff, v2
.LBB15_39:
	s_or_b64 exec, exec, s[10:11]
	v_add_u32_e32 v2, 0x4c0, v10
	v_cmp_gt_u32_e64 s[42:43], s7, v2
	s_and_saveexec_b64 s[10:11], s[42:43]
	s_cbranch_execz .LBB15_41
; %bb.40:
	v_add_co_u32_e32 v32, vcc, 0x1000, v8
	s_nop 1
	v_addc_co_u32_e32 v33, vcc, 0, v9, vcc
	global_load_dword v2, v[32:33], off offset:768
	s_waitcnt vmcnt(0)
	v_xor_b32_e32 v29, 0x7fffffff, v2
.LBB15_41:
	s_or_b64 exec, exec, s[10:11]
	v_add_u32_e32 v2, 0x500, v10
	v_cmp_gt_u32_e64 s[44:45], s7, v2
	v_mov_b32_e32 v31, -1
	v_mov_b32_e32 v32, -1
	s_and_saveexec_b64 s[10:11], s[44:45]
	s_cbranch_execz .LBB15_43
; %bb.42:
	v_add_co_u32_e32 v32, vcc, 0x1000, v8
	s_nop 1
	v_addc_co_u32_e32 v33, vcc, 0, v9, vcc
	global_load_dword v2, v[32:33], off offset:1024
	s_waitcnt vmcnt(0)
	v_xor_b32_e32 v32, 0x7fffffff, v2
.LBB15_43:
	s_or_b64 exec, exec, s[10:11]
	v_add_u32_e32 v10, 0x540, v10
	v_and_b32_e32 v2, 0x3ff, v0
	v_cmp_gt_u32_e64 s[46:47], s7, v10
	s_and_saveexec_b64 s[10:11], s[46:47]
	s_cbranch_execz .LBB15_45
; %bb.44:
	v_add_co_u32_e32 v8, vcc, 0x1000, v8
	s_nop 1
	v_addc_co_u32_e32 v9, vcc, 0, v9, vcc
	global_load_dword v8, v[8:9], off offset:1280
	s_waitcnt vmcnt(0)
	v_xor_b32_e32 v31, 0x7fffffff, v8
.LBB15_45:
	s_or_b64 exec, exec, s[10:11]
	s_load_dword s4, s[0:1], 0x5c
	s_load_dword s10, s[0:1], 0x50
	s_add_u32 s5, s0, 0x50
	s_addc_u32 s11, s1, 0
	v_mov_b32_e32 v9, 0
	s_waitcnt lgkmcnt(0)
	s_lshr_b32 s4, s4, 16
	s_cmp_lt_u32 s2, s10
	s_cselect_b32 s10, 12, 18
	s_add_u32 s10, s5, s10
	s_addc_u32 s11, s11, 0
	global_load_ushort v48, v9, s[10:11]
	v_bfe_u32 v8, v0, 10, 10
	v_bfe_u32 v11, v0, 20, 10
	v_lshrrev_b32_e32 v35, s8, v12
	v_mad_u32_u24 v49, v11, s4, v8
	s_lshl_b32 s4, -1, s9
	v_bitop3_b32 v45, v35, s4, v35 bitop3:0x30
	v_and_b32_e32 v8, 1, v45
	v_lshlrev_b32_e32 v11, 30, v45
	v_mov_b32_e32 v10, v9
	v_mov_b32_e32 v36, v9
	v_lshlrev_b32_e32 v35, 29, v45
	v_lshlrev_b32_e32 v37, 28, v45
	v_lshl_add_u64 v[46:47], v[8:9], 0, -1
	v_cmp_ne_u32_e32 vcc, 0, v8
	v_not_b32_e32 v8, v11
	v_mov_b32_e32 v34, v9
	v_mov_b32_e32 v38, v9
	v_lshlrev_b32_e32 v39, 27, v45
	v_cmp_gt_i64_e64 s[48:49], 0, v[10:11]
	v_not_b32_e32 v10, v35
	v_cmp_gt_i64_e64 s[52:53], 0, v[36:37]
	v_not_b32_e32 v11, v37
	v_xor_b32_e32 v37, vcc_hi, v47
	v_ashrrev_i32_e32 v8, 31, v8
	v_mov_b32_e32 v40, v9
	v_lshlrev_b32_e32 v41, 26, v45
	v_cmp_gt_i64_e64 s[50:51], 0, v[34:35]
	v_cmp_gt_i64_e64 s[54:55], 0, v[38:39]
	v_not_b32_e32 v34, v39
	v_xor_b32_e32 v38, vcc_lo, v46
	v_ashrrev_i32_e32 v10, 31, v10
	v_and_b32_e32 v37, exec_hi, v37
	v_xor_b32_e32 v39, s49, v8
	v_cmp_gt_i64_e64 s[56:57], 0, v[40:41]
	v_ashrrev_i32_e32 v11, 31, v11
	v_and_b32_e32 v38, exec_lo, v38
	v_xor_b32_e32 v8, s48, v8
	v_xor_b32_e32 v40, s51, v10
	v_and_b32_e32 v37, v37, v39
	v_mov_b32_e32 v42, v9
	v_lshlrev_b32_e32 v43, 25, v45
	v_not_b32_e32 v35, v41
	v_ashrrev_i32_e32 v34, 31, v34
	v_xor_b32_e32 v10, s50, v10
	v_xor_b32_e32 v41, s53, v11
	v_and_b32_e32 v8, v38, v8
	v_and_b32_e32 v37, v37, v40
	v_cmp_gt_i64_e64 s[58:59], 0, v[42:43]
	v_not_b32_e32 v36, v43
	v_ashrrev_i32_e32 v35, 31, v35
	v_xor_b32_e32 v42, s55, v34
	v_and_b32_e32 v8, v8, v10
	v_and_b32_e32 v10, v37, v41
	v_ashrrev_i32_e32 v36, 31, v36
	v_xor_b32_e32 v11, s52, v11
	v_xor_b32_e32 v43, s57, v35
	v_and_b32_e32 v10, v10, v42
	v_xor_b32_e32 v34, s54, v34
	v_xor_b32_e32 v46, s59, v36
	v_and_b32_e32 v8, v8, v11
	v_and_b32_e32 v10, v10, v43
	v_mul_lo_u32 v50, v45, 20
	v_lshlrev_b32_e32 v45, 24, v45
	v_and_b32_e32 v8, v8, v34
	v_and_b32_e32 v34, v10, v46
	v_mov_b32_e32 v44, v9
	v_xor_b32_e32 v35, s56, v35
	v_xor_b32_e32 v36, s58, v36
	v_and_b32_e32 v8, v8, v35
	v_cmp_gt_i64_e32 vcc, 0, v[44:45]
	v_and_b32_e32 v8, v8, v36
	v_mul_u32_u24_e32 v33, 20, v2
	s_not_b32 s33, s4
	ds_write2_b32 v33, v9, v9 offset0:4 offset1:5
	ds_write2_b32 v33, v9, v9 offset0:6 offset1:7
	ds_write_b32 v33, v9 offset:32
	s_waitcnt lgkmcnt(0)
	s_barrier
	s_waitcnt vmcnt(0)
	; wave barrier
	v_mad_u64_u32 v[10:11], s[10:11], v49, v48, v[2:3]
	v_lshrrev_b32_e32 v43, 6, v10
	v_not_b32_e32 v10, v45
	v_ashrrev_i32_e32 v10, 31, v10
	v_xor_b32_e32 v11, vcc_hi, v10
	v_xor_b32_e32 v10, vcc_lo, v10
	v_and_b32_e32 v10, v8, v10
	v_and_b32_e32 v11, v34, v11
	v_mbcnt_lo_u32_b32 v8, v10, 0
	v_mbcnt_hi_u32_b32 v34, v11, v8
	v_cmp_eq_u32_e32 vcc, 0, v34
	v_cmp_ne_u64_e64 s[48:49], 0, v[10:11]
	v_lshl_add_u32 v35, v43, 2, v50
	s_and_b64 s[48:49], s[48:49], vcc
	s_and_saveexec_b64 s[10:11], s[48:49]
; %bb.46:
	v_bcnt_u32_b32 v8, v10, 0
	v_bcnt_u32_b32 v8, v11, v8
	ds_write_b32 v35, v8 offset:16
; %bb.47:
	s_or_b64 exec, exec, s[10:11]
	v_lshrrev_b32_e32 v8, s8, v3
	v_and_b32_e32 v38, s33, v8
	v_mul_lo_u32 v8, v38, 20
	v_lshl_add_u32 v37, v43, 2, v8
	v_and_b32_e32 v8, 1, v38
	v_lshl_add_u64 v[10:11], v[8:9], 0, -1
	v_cmp_ne_u32_e32 vcc, 0, v8
	; wave barrier
	s_nop 1
	v_xor_b32_e32 v10, vcc_lo, v10
	v_xor_b32_e32 v8, vcc_hi, v11
	v_and_b32_e32 v39, exec_lo, v10
	v_lshlrev_b32_e32 v11, 30, v38
	v_mov_b32_e32 v10, v9
	v_cmp_gt_i64_e32 vcc, 0, v[10:11]
	v_not_b32_e32 v10, v11
	v_ashrrev_i32_e32 v10, 31, v10
	v_and_b32_e32 v8, exec_hi, v8
	v_xor_b32_e32 v11, vcc_hi, v10
	v_xor_b32_e32 v10, vcc_lo, v10
	v_and_b32_e32 v8, v8, v11
	v_and_b32_e32 v39, v39, v10
	v_lshlrev_b32_e32 v11, 29, v38
	v_mov_b32_e32 v10, v9
	v_cmp_gt_i64_e32 vcc, 0, v[10:11]
	v_not_b32_e32 v10, v11
	v_ashrrev_i32_e32 v10, 31, v10
	v_xor_b32_e32 v11, vcc_hi, v10
	v_xor_b32_e32 v10, vcc_lo, v10
	v_and_b32_e32 v8, v8, v11
	v_and_b32_e32 v39, v39, v10
	v_lshlrev_b32_e32 v11, 28, v38
	v_mov_b32_e32 v10, v9
	v_cmp_gt_i64_e32 vcc, 0, v[10:11]
	v_not_b32_e32 v10, v11
	v_ashrrev_i32_e32 v10, 31, v10
	;; [unrolled: 9-line block ×5, first 2 shown]
	v_xor_b32_e32 v11, vcc_hi, v10
	v_xor_b32_e32 v10, vcc_lo, v10
	v_and_b32_e32 v8, v8, v11
	v_lshlrev_b32_e32 v11, 24, v38
	v_and_b32_e32 v39, v39, v10
	v_mov_b32_e32 v10, v9
	v_not_b32_e32 v9, v11
	v_cmp_gt_i64_e32 vcc, 0, v[10:11]
	v_ashrrev_i32_e32 v9, 31, v9
	ds_read_b32 v36, v37 offset:16
	v_xor_b32_e32 v10, vcc_hi, v9
	v_xor_b32_e32 v11, vcc_lo, v9
	v_and_b32_e32 v9, v8, v10
	v_and_b32_e32 v8, v39, v11
	v_mbcnt_lo_u32_b32 v10, v8, 0
	v_mbcnt_hi_u32_b32 v38, v9, v10
	v_cmp_eq_u32_e32 vcc, 0, v38
	v_cmp_ne_u64_e64 s[48:49], 0, v[8:9]
	s_and_b64 s[48:49], s[48:49], vcc
	; wave barrier
	s_and_saveexec_b64 s[10:11], s[48:49]
	s_cbranch_execz .LBB15_49
; %bb.48:
	v_bcnt_u32_b32 v8, v8, 0
	v_bcnt_u32_b32 v8, v9, v8
	s_waitcnt lgkmcnt(0)
	v_add_u32_e32 v8, v36, v8
	ds_write_b32 v37, v8 offset:16
.LBB15_49:
	s_or_b64 exec, exec, s[10:11]
	v_lshrrev_b32_e32 v8, s8, v14
	v_and_b32_e32 v41, s33, v8
	v_mul_lo_u32 v8, v41, 20
	v_lshl_add_u32 v40, v43, 2, v8
	v_and_b32_e32 v8, 1, v41
	v_mov_b32_e32 v9, 0
	v_lshl_add_u64 v[10:11], v[8:9], 0, -1
	v_cmp_ne_u32_e32 vcc, 0, v8
	; wave barrier
	s_nop 1
	v_xor_b32_e32 v10, vcc_lo, v10
	v_xor_b32_e32 v8, vcc_hi, v11
	v_and_b32_e32 v42, exec_lo, v10
	v_lshlrev_b32_e32 v11, 30, v41
	v_mov_b32_e32 v10, v9
	v_cmp_gt_i64_e32 vcc, 0, v[10:11]
	v_not_b32_e32 v10, v11
	v_ashrrev_i32_e32 v10, 31, v10
	v_and_b32_e32 v8, exec_hi, v8
	v_xor_b32_e32 v11, vcc_hi, v10
	v_xor_b32_e32 v10, vcc_lo, v10
	v_and_b32_e32 v8, v8, v11
	v_and_b32_e32 v42, v42, v10
	v_lshlrev_b32_e32 v11, 29, v41
	v_mov_b32_e32 v10, v9
	v_cmp_gt_i64_e32 vcc, 0, v[10:11]
	v_not_b32_e32 v10, v11
	v_ashrrev_i32_e32 v10, 31, v10
	v_xor_b32_e32 v11, vcc_hi, v10
	v_xor_b32_e32 v10, vcc_lo, v10
	v_and_b32_e32 v8, v8, v11
	v_and_b32_e32 v42, v42, v10
	v_lshlrev_b32_e32 v11, 28, v41
	v_mov_b32_e32 v10, v9
	v_cmp_gt_i64_e32 vcc, 0, v[10:11]
	v_not_b32_e32 v10, v11
	v_ashrrev_i32_e32 v10, 31, v10
	;; [unrolled: 9-line block ×6, first 2 shown]
	v_xor_b32_e32 v11, vcc_hi, v10
	v_xor_b32_e32 v10, vcc_lo, v10
	ds_read_b32 v39, v40 offset:16
	v_and_b32_e32 v10, v42, v10
	v_and_b32_e32 v11, v8, v11
	v_mbcnt_lo_u32_b32 v8, v10, 0
	v_mbcnt_hi_u32_b32 v41, v11, v8
	v_cmp_eq_u32_e32 vcc, 0, v41
	v_cmp_ne_u64_e64 s[48:49], 0, v[10:11]
	s_and_b64 s[48:49], s[48:49], vcc
	; wave barrier
	s_and_saveexec_b64 s[10:11], s[48:49]
	s_cbranch_execz .LBB15_51
; %bb.50:
	v_bcnt_u32_b32 v8, v10, 0
	v_bcnt_u32_b32 v8, v11, v8
	s_waitcnt lgkmcnt(0)
	v_add_u32_e32 v8, v39, v8
	ds_write_b32 v40, v8 offset:16
.LBB15_51:
	s_or_b64 exec, exec, s[10:11]
	v_lshrrev_b32_e32 v8, s8, v13
	v_and_b32_e32 v45, s33, v8
	v_mul_lo_u32 v8, v45, 20
	v_lshl_add_u32 v44, v43, 2, v8
	v_and_b32_e32 v8, 1, v45
	v_lshl_add_u64 v[10:11], v[8:9], 0, -1
	v_cmp_ne_u32_e32 vcc, 0, v8
	; wave barrier
	s_nop 1
	v_xor_b32_e32 v10, vcc_lo, v10
	v_xor_b32_e32 v8, vcc_hi, v11
	v_and_b32_e32 v46, exec_lo, v10
	v_lshlrev_b32_e32 v11, 30, v45
	v_mov_b32_e32 v10, v9
	v_cmp_gt_i64_e32 vcc, 0, v[10:11]
	v_not_b32_e32 v10, v11
	v_ashrrev_i32_e32 v10, 31, v10
	v_and_b32_e32 v8, exec_hi, v8
	v_xor_b32_e32 v11, vcc_hi, v10
	v_xor_b32_e32 v10, vcc_lo, v10
	v_and_b32_e32 v8, v8, v11
	v_and_b32_e32 v46, v46, v10
	v_lshlrev_b32_e32 v11, 29, v45
	v_mov_b32_e32 v10, v9
	v_cmp_gt_i64_e32 vcc, 0, v[10:11]
	v_not_b32_e32 v10, v11
	v_ashrrev_i32_e32 v10, 31, v10
	v_xor_b32_e32 v11, vcc_hi, v10
	v_xor_b32_e32 v10, vcc_lo, v10
	v_and_b32_e32 v8, v8, v11
	v_and_b32_e32 v46, v46, v10
	v_lshlrev_b32_e32 v11, 28, v45
	v_mov_b32_e32 v10, v9
	v_cmp_gt_i64_e32 vcc, 0, v[10:11]
	v_not_b32_e32 v10, v11
	v_ashrrev_i32_e32 v10, 31, v10
	;; [unrolled: 9-line block ×5, first 2 shown]
	v_xor_b32_e32 v11, vcc_hi, v10
	v_xor_b32_e32 v10, vcc_lo, v10
	v_and_b32_e32 v8, v8, v11
	v_lshlrev_b32_e32 v11, 24, v45
	v_and_b32_e32 v46, v46, v10
	v_mov_b32_e32 v10, v9
	v_not_b32_e32 v9, v11
	v_cmp_gt_i64_e32 vcc, 0, v[10:11]
	v_ashrrev_i32_e32 v9, 31, v9
	ds_read_b32 v42, v44 offset:16
	v_xor_b32_e32 v10, vcc_hi, v9
	v_xor_b32_e32 v11, vcc_lo, v9
	v_and_b32_e32 v9, v8, v10
	v_and_b32_e32 v8, v46, v11
	v_mbcnt_lo_u32_b32 v10, v8, 0
	v_mbcnt_hi_u32_b32 v45, v9, v10
	v_cmp_eq_u32_e32 vcc, 0, v45
	v_cmp_ne_u64_e64 s[48:49], 0, v[8:9]
	s_and_b64 s[48:49], s[48:49], vcc
	; wave barrier
	s_and_saveexec_b64 s[10:11], s[48:49]
	s_cbranch_execz .LBB15_53
; %bb.52:
	v_bcnt_u32_b32 v8, v8, 0
	v_bcnt_u32_b32 v8, v9, v8
	s_waitcnt lgkmcnt(0)
	v_add_u32_e32 v8, v42, v8
	ds_write_b32 v44, v8 offset:16
.LBB15_53:
	s_or_b64 exec, exec, s[10:11]
	v_lshrrev_b32_e32 v8, s8, v16
	v_and_b32_e32 v48, s33, v8
	v_mul_lo_u32 v8, v48, 20
	v_lshl_add_u32 v47, v43, 2, v8
	v_and_b32_e32 v8, 1, v48
	v_mov_b32_e32 v9, 0
	v_lshl_add_u64 v[10:11], v[8:9], 0, -1
	v_cmp_ne_u32_e32 vcc, 0, v8
	; wave barrier
	s_nop 1
	v_xor_b32_e32 v10, vcc_lo, v10
	v_xor_b32_e32 v8, vcc_hi, v11
	v_and_b32_e32 v49, exec_lo, v10
	v_lshlrev_b32_e32 v11, 30, v48
	v_mov_b32_e32 v10, v9
	v_cmp_gt_i64_e32 vcc, 0, v[10:11]
	v_not_b32_e32 v10, v11
	v_ashrrev_i32_e32 v10, 31, v10
	v_and_b32_e32 v8, exec_hi, v8
	v_xor_b32_e32 v11, vcc_hi, v10
	v_xor_b32_e32 v10, vcc_lo, v10
	v_and_b32_e32 v8, v8, v11
	v_and_b32_e32 v49, v49, v10
	v_lshlrev_b32_e32 v11, 29, v48
	v_mov_b32_e32 v10, v9
	v_cmp_gt_i64_e32 vcc, 0, v[10:11]
	v_not_b32_e32 v10, v11
	v_ashrrev_i32_e32 v10, 31, v10
	v_xor_b32_e32 v11, vcc_hi, v10
	v_xor_b32_e32 v10, vcc_lo, v10
	v_and_b32_e32 v8, v8, v11
	v_and_b32_e32 v49, v49, v10
	v_lshlrev_b32_e32 v11, 28, v48
	v_mov_b32_e32 v10, v9
	v_cmp_gt_i64_e32 vcc, 0, v[10:11]
	v_not_b32_e32 v10, v11
	v_ashrrev_i32_e32 v10, 31, v10
	;; [unrolled: 9-line block ×6, first 2 shown]
	v_xor_b32_e32 v11, vcc_hi, v10
	v_xor_b32_e32 v10, vcc_lo, v10
	ds_read_b32 v46, v47 offset:16
	v_and_b32_e32 v10, v49, v10
	v_and_b32_e32 v11, v8, v11
	v_mbcnt_lo_u32_b32 v8, v10, 0
	v_mbcnt_hi_u32_b32 v48, v11, v8
	v_cmp_eq_u32_e32 vcc, 0, v48
	v_cmp_ne_u64_e64 s[48:49], 0, v[10:11]
	s_and_b64 s[48:49], s[48:49], vcc
	; wave barrier
	s_and_saveexec_b64 s[10:11], s[48:49]
	s_cbranch_execz .LBB15_55
; %bb.54:
	v_bcnt_u32_b32 v8, v10, 0
	v_bcnt_u32_b32 v8, v11, v8
	s_waitcnt lgkmcnt(0)
	v_add_u32_e32 v8, v46, v8
	ds_write_b32 v47, v8 offset:16
.LBB15_55:
	s_or_b64 exec, exec, s[10:11]
	v_lshrrev_b32_e32 v8, s8, v15
	v_and_b32_e32 v51, s33, v8
	v_mul_lo_u32 v8, v51, 20
	v_lshl_add_u32 v50, v43, 2, v8
	v_and_b32_e32 v8, 1, v51
	v_lshl_add_u64 v[10:11], v[8:9], 0, -1
	v_cmp_ne_u32_e32 vcc, 0, v8
	; wave barrier
	s_nop 1
	v_xor_b32_e32 v10, vcc_lo, v10
	v_xor_b32_e32 v8, vcc_hi, v11
	v_and_b32_e32 v52, exec_lo, v10
	v_lshlrev_b32_e32 v11, 30, v51
	v_mov_b32_e32 v10, v9
	v_cmp_gt_i64_e32 vcc, 0, v[10:11]
	v_not_b32_e32 v10, v11
	v_ashrrev_i32_e32 v10, 31, v10
	v_and_b32_e32 v8, exec_hi, v8
	v_xor_b32_e32 v11, vcc_hi, v10
	v_xor_b32_e32 v10, vcc_lo, v10
	v_and_b32_e32 v8, v8, v11
	v_and_b32_e32 v52, v52, v10
	v_lshlrev_b32_e32 v11, 29, v51
	v_mov_b32_e32 v10, v9
	v_cmp_gt_i64_e32 vcc, 0, v[10:11]
	v_not_b32_e32 v10, v11
	v_ashrrev_i32_e32 v10, 31, v10
	v_xor_b32_e32 v11, vcc_hi, v10
	v_xor_b32_e32 v10, vcc_lo, v10
	v_and_b32_e32 v8, v8, v11
	v_and_b32_e32 v52, v52, v10
	v_lshlrev_b32_e32 v11, 28, v51
	v_mov_b32_e32 v10, v9
	v_cmp_gt_i64_e32 vcc, 0, v[10:11]
	v_not_b32_e32 v10, v11
	v_ashrrev_i32_e32 v10, 31, v10
	;; [unrolled: 9-line block ×5, first 2 shown]
	v_xor_b32_e32 v11, vcc_hi, v10
	v_xor_b32_e32 v10, vcc_lo, v10
	v_and_b32_e32 v8, v8, v11
	v_lshlrev_b32_e32 v11, 24, v51
	v_and_b32_e32 v52, v52, v10
	v_mov_b32_e32 v10, v9
	v_not_b32_e32 v9, v11
	v_cmp_gt_i64_e32 vcc, 0, v[10:11]
	v_ashrrev_i32_e32 v9, 31, v9
	ds_read_b32 v49, v50 offset:16
	v_xor_b32_e32 v10, vcc_hi, v9
	v_xor_b32_e32 v11, vcc_lo, v9
	v_and_b32_e32 v9, v8, v10
	v_and_b32_e32 v8, v52, v11
	v_mbcnt_lo_u32_b32 v10, v8, 0
	v_mbcnt_hi_u32_b32 v51, v9, v10
	v_cmp_eq_u32_e32 vcc, 0, v51
	v_cmp_ne_u64_e64 s[48:49], 0, v[8:9]
	s_and_b64 s[48:49], s[48:49], vcc
	; wave barrier
	s_and_saveexec_b64 s[10:11], s[48:49]
	s_cbranch_execz .LBB15_57
; %bb.56:
	v_bcnt_u32_b32 v8, v8, 0
	v_bcnt_u32_b32 v8, v9, v8
	s_waitcnt lgkmcnt(0)
	v_add_u32_e32 v8, v49, v8
	ds_write_b32 v50, v8 offset:16
.LBB15_57:
	s_or_b64 exec, exec, s[10:11]
	v_lshrrev_b32_e32 v8, s8, v18
	v_and_b32_e32 v54, s33, v8
	v_mul_lo_u32 v8, v54, 20
	v_lshl_add_u32 v53, v43, 2, v8
	v_and_b32_e32 v8, 1, v54
	v_mov_b32_e32 v9, 0
	v_lshl_add_u64 v[10:11], v[8:9], 0, -1
	v_cmp_ne_u32_e32 vcc, 0, v8
	; wave barrier
	s_nop 1
	v_xor_b32_e32 v10, vcc_lo, v10
	v_xor_b32_e32 v8, vcc_hi, v11
	v_and_b32_e32 v55, exec_lo, v10
	v_lshlrev_b32_e32 v11, 30, v54
	v_mov_b32_e32 v10, v9
	v_cmp_gt_i64_e32 vcc, 0, v[10:11]
	v_not_b32_e32 v10, v11
	v_ashrrev_i32_e32 v10, 31, v10
	v_and_b32_e32 v8, exec_hi, v8
	v_xor_b32_e32 v11, vcc_hi, v10
	v_xor_b32_e32 v10, vcc_lo, v10
	v_and_b32_e32 v8, v8, v11
	v_and_b32_e32 v55, v55, v10
	v_lshlrev_b32_e32 v11, 29, v54
	v_mov_b32_e32 v10, v9
	v_cmp_gt_i64_e32 vcc, 0, v[10:11]
	v_not_b32_e32 v10, v11
	v_ashrrev_i32_e32 v10, 31, v10
	v_xor_b32_e32 v11, vcc_hi, v10
	v_xor_b32_e32 v10, vcc_lo, v10
	v_and_b32_e32 v8, v8, v11
	v_and_b32_e32 v55, v55, v10
	v_lshlrev_b32_e32 v11, 28, v54
	v_mov_b32_e32 v10, v9
	v_cmp_gt_i64_e32 vcc, 0, v[10:11]
	v_not_b32_e32 v10, v11
	v_ashrrev_i32_e32 v10, 31, v10
	;; [unrolled: 9-line block ×6, first 2 shown]
	v_xor_b32_e32 v11, vcc_hi, v10
	v_xor_b32_e32 v10, vcc_lo, v10
	ds_read_b32 v52, v53 offset:16
	v_and_b32_e32 v10, v55, v10
	v_and_b32_e32 v11, v8, v11
	v_mbcnt_lo_u32_b32 v8, v10, 0
	v_mbcnt_hi_u32_b32 v54, v11, v8
	v_cmp_eq_u32_e32 vcc, 0, v54
	v_cmp_ne_u64_e64 s[48:49], 0, v[10:11]
	s_and_b64 s[48:49], s[48:49], vcc
	; wave barrier
	s_and_saveexec_b64 s[10:11], s[48:49]
	s_cbranch_execz .LBB15_59
; %bb.58:
	v_bcnt_u32_b32 v8, v10, 0
	v_bcnt_u32_b32 v8, v11, v8
	s_waitcnt lgkmcnt(0)
	v_add_u32_e32 v8, v52, v8
	ds_write_b32 v53, v8 offset:16
.LBB15_59:
	s_or_b64 exec, exec, s[10:11]
	v_lshrrev_b32_e32 v8, s8, v17
	v_and_b32_e32 v57, s33, v8
	v_mul_lo_u32 v8, v57, 20
	v_lshl_add_u32 v56, v43, 2, v8
	v_and_b32_e32 v8, 1, v57
	v_lshl_add_u64 v[10:11], v[8:9], 0, -1
	v_cmp_ne_u32_e32 vcc, 0, v8
	; wave barrier
	s_nop 1
	v_xor_b32_e32 v10, vcc_lo, v10
	v_xor_b32_e32 v8, vcc_hi, v11
	v_and_b32_e32 v58, exec_lo, v10
	v_lshlrev_b32_e32 v11, 30, v57
	v_mov_b32_e32 v10, v9
	v_cmp_gt_i64_e32 vcc, 0, v[10:11]
	v_not_b32_e32 v10, v11
	v_ashrrev_i32_e32 v10, 31, v10
	v_and_b32_e32 v8, exec_hi, v8
	v_xor_b32_e32 v11, vcc_hi, v10
	v_xor_b32_e32 v10, vcc_lo, v10
	v_and_b32_e32 v8, v8, v11
	v_and_b32_e32 v58, v58, v10
	v_lshlrev_b32_e32 v11, 29, v57
	v_mov_b32_e32 v10, v9
	v_cmp_gt_i64_e32 vcc, 0, v[10:11]
	v_not_b32_e32 v10, v11
	v_ashrrev_i32_e32 v10, 31, v10
	v_xor_b32_e32 v11, vcc_hi, v10
	v_xor_b32_e32 v10, vcc_lo, v10
	v_and_b32_e32 v8, v8, v11
	v_and_b32_e32 v58, v58, v10
	v_lshlrev_b32_e32 v11, 28, v57
	v_mov_b32_e32 v10, v9
	v_cmp_gt_i64_e32 vcc, 0, v[10:11]
	v_not_b32_e32 v10, v11
	v_ashrrev_i32_e32 v10, 31, v10
	;; [unrolled: 9-line block ×5, first 2 shown]
	v_xor_b32_e32 v11, vcc_hi, v10
	v_xor_b32_e32 v10, vcc_lo, v10
	v_and_b32_e32 v8, v8, v11
	v_lshlrev_b32_e32 v11, 24, v57
	v_and_b32_e32 v58, v58, v10
	v_mov_b32_e32 v10, v9
	v_not_b32_e32 v9, v11
	v_cmp_gt_i64_e32 vcc, 0, v[10:11]
	v_ashrrev_i32_e32 v9, 31, v9
	ds_read_b32 v55, v56 offset:16
	v_xor_b32_e32 v10, vcc_hi, v9
	v_xor_b32_e32 v11, vcc_lo, v9
	v_and_b32_e32 v9, v8, v10
	v_and_b32_e32 v8, v58, v11
	v_mbcnt_lo_u32_b32 v10, v8, 0
	v_mbcnt_hi_u32_b32 v57, v9, v10
	v_cmp_eq_u32_e32 vcc, 0, v57
	v_cmp_ne_u64_e64 s[48:49], 0, v[8:9]
	s_and_b64 s[48:49], s[48:49], vcc
	; wave barrier
	s_and_saveexec_b64 s[10:11], s[48:49]
	s_cbranch_execz .LBB15_61
; %bb.60:
	v_bcnt_u32_b32 v8, v8, 0
	v_bcnt_u32_b32 v8, v9, v8
	s_waitcnt lgkmcnt(0)
	v_add_u32_e32 v8, v55, v8
	ds_write_b32 v56, v8 offset:16
.LBB15_61:
	s_or_b64 exec, exec, s[10:11]
	v_lshrrev_b32_e32 v8, s8, v20
	v_and_b32_e32 v60, s33, v8
	v_mul_lo_u32 v8, v60, 20
	v_lshl_add_u32 v59, v43, 2, v8
	v_and_b32_e32 v8, 1, v60
	v_mov_b32_e32 v9, 0
	v_lshl_add_u64 v[10:11], v[8:9], 0, -1
	v_cmp_ne_u32_e32 vcc, 0, v8
	; wave barrier
	s_nop 1
	v_xor_b32_e32 v10, vcc_lo, v10
	v_xor_b32_e32 v8, vcc_hi, v11
	v_and_b32_e32 v61, exec_lo, v10
	v_lshlrev_b32_e32 v11, 30, v60
	v_mov_b32_e32 v10, v9
	v_cmp_gt_i64_e32 vcc, 0, v[10:11]
	v_not_b32_e32 v10, v11
	v_ashrrev_i32_e32 v10, 31, v10
	v_and_b32_e32 v8, exec_hi, v8
	v_xor_b32_e32 v11, vcc_hi, v10
	v_xor_b32_e32 v10, vcc_lo, v10
	v_and_b32_e32 v8, v8, v11
	v_and_b32_e32 v61, v61, v10
	v_lshlrev_b32_e32 v11, 29, v60
	v_mov_b32_e32 v10, v9
	v_cmp_gt_i64_e32 vcc, 0, v[10:11]
	v_not_b32_e32 v10, v11
	v_ashrrev_i32_e32 v10, 31, v10
	v_xor_b32_e32 v11, vcc_hi, v10
	v_xor_b32_e32 v10, vcc_lo, v10
	v_and_b32_e32 v8, v8, v11
	v_and_b32_e32 v61, v61, v10
	v_lshlrev_b32_e32 v11, 28, v60
	v_mov_b32_e32 v10, v9
	v_cmp_gt_i64_e32 vcc, 0, v[10:11]
	v_not_b32_e32 v10, v11
	v_ashrrev_i32_e32 v10, 31, v10
	;; [unrolled: 9-line block ×6, first 2 shown]
	v_xor_b32_e32 v11, vcc_hi, v10
	v_xor_b32_e32 v10, vcc_lo, v10
	ds_read_b32 v58, v59 offset:16
	v_and_b32_e32 v10, v61, v10
	v_and_b32_e32 v11, v8, v11
	v_mbcnt_lo_u32_b32 v8, v10, 0
	v_mbcnt_hi_u32_b32 v60, v11, v8
	v_cmp_eq_u32_e32 vcc, 0, v60
	v_cmp_ne_u64_e64 s[48:49], 0, v[10:11]
	s_and_b64 s[48:49], s[48:49], vcc
	; wave barrier
	s_and_saveexec_b64 s[10:11], s[48:49]
	s_cbranch_execz .LBB15_63
; %bb.62:
	v_bcnt_u32_b32 v8, v10, 0
	v_bcnt_u32_b32 v8, v11, v8
	s_waitcnt lgkmcnt(0)
	v_add_u32_e32 v8, v58, v8
	ds_write_b32 v59, v8 offset:16
.LBB15_63:
	s_or_b64 exec, exec, s[10:11]
	v_lshrrev_b32_e32 v8, s8, v19
	v_and_b32_e32 v63, s33, v8
	v_mul_lo_u32 v8, v63, 20
	v_lshl_add_u32 v62, v43, 2, v8
	v_and_b32_e32 v8, 1, v63
	v_lshl_add_u64 v[10:11], v[8:9], 0, -1
	v_cmp_ne_u32_e32 vcc, 0, v8
	; wave barrier
	s_nop 1
	v_xor_b32_e32 v10, vcc_lo, v10
	v_xor_b32_e32 v8, vcc_hi, v11
	v_and_b32_e32 v64, exec_lo, v10
	v_lshlrev_b32_e32 v11, 30, v63
	v_mov_b32_e32 v10, v9
	v_cmp_gt_i64_e32 vcc, 0, v[10:11]
	v_not_b32_e32 v10, v11
	v_ashrrev_i32_e32 v10, 31, v10
	v_and_b32_e32 v8, exec_hi, v8
	v_xor_b32_e32 v11, vcc_hi, v10
	v_xor_b32_e32 v10, vcc_lo, v10
	v_and_b32_e32 v8, v8, v11
	v_and_b32_e32 v64, v64, v10
	v_lshlrev_b32_e32 v11, 29, v63
	v_mov_b32_e32 v10, v9
	v_cmp_gt_i64_e32 vcc, 0, v[10:11]
	v_not_b32_e32 v10, v11
	v_ashrrev_i32_e32 v10, 31, v10
	v_xor_b32_e32 v11, vcc_hi, v10
	v_xor_b32_e32 v10, vcc_lo, v10
	v_and_b32_e32 v8, v8, v11
	v_and_b32_e32 v64, v64, v10
	v_lshlrev_b32_e32 v11, 28, v63
	v_mov_b32_e32 v10, v9
	v_cmp_gt_i64_e32 vcc, 0, v[10:11]
	v_not_b32_e32 v10, v11
	v_ashrrev_i32_e32 v10, 31, v10
	;; [unrolled: 9-line block ×5, first 2 shown]
	v_xor_b32_e32 v11, vcc_hi, v10
	v_xor_b32_e32 v10, vcc_lo, v10
	v_and_b32_e32 v8, v8, v11
	v_lshlrev_b32_e32 v11, 24, v63
	v_and_b32_e32 v64, v64, v10
	v_mov_b32_e32 v10, v9
	v_not_b32_e32 v9, v11
	v_cmp_gt_i64_e32 vcc, 0, v[10:11]
	v_ashrrev_i32_e32 v9, 31, v9
	ds_read_b32 v61, v62 offset:16
	v_xor_b32_e32 v10, vcc_hi, v9
	v_xor_b32_e32 v11, vcc_lo, v9
	v_and_b32_e32 v9, v8, v10
	v_and_b32_e32 v8, v64, v11
	v_mbcnt_lo_u32_b32 v10, v8, 0
	v_mbcnt_hi_u32_b32 v63, v9, v10
	v_cmp_eq_u32_e32 vcc, 0, v63
	v_cmp_ne_u64_e64 s[48:49], 0, v[8:9]
	s_and_b64 s[48:49], s[48:49], vcc
	; wave barrier
	s_and_saveexec_b64 s[10:11], s[48:49]
	s_cbranch_execz .LBB15_65
; %bb.64:
	v_bcnt_u32_b32 v8, v8, 0
	v_bcnt_u32_b32 v8, v9, v8
	s_waitcnt lgkmcnt(0)
	v_add_u32_e32 v8, v61, v8
	ds_write_b32 v62, v8 offset:16
.LBB15_65:
	s_or_b64 exec, exec, s[10:11]
	v_lshrrev_b32_e32 v8, s8, v22
	v_and_b32_e32 v66, s33, v8
	v_mul_lo_u32 v8, v66, 20
	v_lshl_add_u32 v65, v43, 2, v8
	v_and_b32_e32 v8, 1, v66
	v_mov_b32_e32 v9, 0
	v_lshl_add_u64 v[10:11], v[8:9], 0, -1
	v_cmp_ne_u32_e32 vcc, 0, v8
	; wave barrier
	s_nop 1
	v_xor_b32_e32 v10, vcc_lo, v10
	v_xor_b32_e32 v8, vcc_hi, v11
	v_and_b32_e32 v67, exec_lo, v10
	v_lshlrev_b32_e32 v11, 30, v66
	v_mov_b32_e32 v10, v9
	v_cmp_gt_i64_e32 vcc, 0, v[10:11]
	v_not_b32_e32 v10, v11
	v_ashrrev_i32_e32 v10, 31, v10
	v_and_b32_e32 v8, exec_hi, v8
	v_xor_b32_e32 v11, vcc_hi, v10
	v_xor_b32_e32 v10, vcc_lo, v10
	v_and_b32_e32 v8, v8, v11
	v_and_b32_e32 v67, v67, v10
	v_lshlrev_b32_e32 v11, 29, v66
	v_mov_b32_e32 v10, v9
	v_cmp_gt_i64_e32 vcc, 0, v[10:11]
	v_not_b32_e32 v10, v11
	v_ashrrev_i32_e32 v10, 31, v10
	v_xor_b32_e32 v11, vcc_hi, v10
	v_xor_b32_e32 v10, vcc_lo, v10
	v_and_b32_e32 v8, v8, v11
	v_and_b32_e32 v67, v67, v10
	v_lshlrev_b32_e32 v11, 28, v66
	v_mov_b32_e32 v10, v9
	v_cmp_gt_i64_e32 vcc, 0, v[10:11]
	v_not_b32_e32 v10, v11
	v_ashrrev_i32_e32 v10, 31, v10
	;; [unrolled: 9-line block ×6, first 2 shown]
	v_xor_b32_e32 v11, vcc_hi, v10
	v_xor_b32_e32 v10, vcc_lo, v10
	ds_read_b32 v64, v65 offset:16
	v_and_b32_e32 v10, v67, v10
	v_and_b32_e32 v11, v8, v11
	v_mbcnt_lo_u32_b32 v8, v10, 0
	v_mbcnt_hi_u32_b32 v66, v11, v8
	v_cmp_eq_u32_e32 vcc, 0, v66
	v_cmp_ne_u64_e64 s[48:49], 0, v[10:11]
	s_and_b64 s[48:49], s[48:49], vcc
	; wave barrier
	s_and_saveexec_b64 s[10:11], s[48:49]
	s_cbranch_execz .LBB15_67
; %bb.66:
	v_bcnt_u32_b32 v8, v10, 0
	v_bcnt_u32_b32 v8, v11, v8
	s_waitcnt lgkmcnt(0)
	v_add_u32_e32 v8, v64, v8
	ds_write_b32 v65, v8 offset:16
.LBB15_67:
	s_or_b64 exec, exec, s[10:11]
	v_lshrrev_b32_e32 v8, s8, v21
	v_and_b32_e32 v69, s33, v8
	v_mul_lo_u32 v8, v69, 20
	v_lshl_add_u32 v68, v43, 2, v8
	v_and_b32_e32 v8, 1, v69
	v_lshl_add_u64 v[10:11], v[8:9], 0, -1
	v_cmp_ne_u32_e32 vcc, 0, v8
	; wave barrier
	s_nop 1
	v_xor_b32_e32 v10, vcc_lo, v10
	v_xor_b32_e32 v8, vcc_hi, v11
	v_and_b32_e32 v70, exec_lo, v10
	v_lshlrev_b32_e32 v11, 30, v69
	v_mov_b32_e32 v10, v9
	v_cmp_gt_i64_e32 vcc, 0, v[10:11]
	v_not_b32_e32 v10, v11
	v_ashrrev_i32_e32 v10, 31, v10
	v_and_b32_e32 v8, exec_hi, v8
	v_xor_b32_e32 v11, vcc_hi, v10
	v_xor_b32_e32 v10, vcc_lo, v10
	v_and_b32_e32 v8, v8, v11
	v_and_b32_e32 v70, v70, v10
	v_lshlrev_b32_e32 v11, 29, v69
	v_mov_b32_e32 v10, v9
	v_cmp_gt_i64_e32 vcc, 0, v[10:11]
	v_not_b32_e32 v10, v11
	v_ashrrev_i32_e32 v10, 31, v10
	v_xor_b32_e32 v11, vcc_hi, v10
	v_xor_b32_e32 v10, vcc_lo, v10
	v_and_b32_e32 v8, v8, v11
	v_and_b32_e32 v70, v70, v10
	v_lshlrev_b32_e32 v11, 28, v69
	v_mov_b32_e32 v10, v9
	v_cmp_gt_i64_e32 vcc, 0, v[10:11]
	v_not_b32_e32 v10, v11
	v_ashrrev_i32_e32 v10, 31, v10
	;; [unrolled: 9-line block ×5, first 2 shown]
	v_xor_b32_e32 v11, vcc_hi, v10
	v_xor_b32_e32 v10, vcc_lo, v10
	v_and_b32_e32 v8, v8, v11
	v_lshlrev_b32_e32 v11, 24, v69
	v_and_b32_e32 v70, v70, v10
	v_mov_b32_e32 v10, v9
	v_not_b32_e32 v9, v11
	v_cmp_gt_i64_e32 vcc, 0, v[10:11]
	v_ashrrev_i32_e32 v9, 31, v9
	ds_read_b32 v67, v68 offset:16
	v_xor_b32_e32 v10, vcc_hi, v9
	v_xor_b32_e32 v11, vcc_lo, v9
	v_and_b32_e32 v9, v8, v10
	v_and_b32_e32 v8, v70, v11
	v_mbcnt_lo_u32_b32 v10, v8, 0
	v_mbcnt_hi_u32_b32 v69, v9, v10
	v_cmp_eq_u32_e32 vcc, 0, v69
	v_cmp_ne_u64_e64 s[48:49], 0, v[8:9]
	s_and_b64 s[48:49], s[48:49], vcc
	; wave barrier
	s_and_saveexec_b64 s[10:11], s[48:49]
	s_cbranch_execz .LBB15_69
; %bb.68:
	v_bcnt_u32_b32 v8, v8, 0
	v_bcnt_u32_b32 v8, v9, v8
	s_waitcnt lgkmcnt(0)
	v_add_u32_e32 v8, v67, v8
	ds_write_b32 v68, v8 offset:16
.LBB15_69:
	s_or_b64 exec, exec, s[10:11]
	v_lshrrev_b32_e32 v8, s8, v24
	v_and_b32_e32 v72, s33, v8
	v_mul_lo_u32 v8, v72, 20
	v_lshl_add_u32 v71, v43, 2, v8
	v_and_b32_e32 v8, 1, v72
	v_mov_b32_e32 v9, 0
	v_lshl_add_u64 v[10:11], v[8:9], 0, -1
	v_cmp_ne_u32_e32 vcc, 0, v8
	; wave barrier
	s_nop 1
	v_xor_b32_e32 v10, vcc_lo, v10
	v_xor_b32_e32 v8, vcc_hi, v11
	v_and_b32_e32 v73, exec_lo, v10
	v_lshlrev_b32_e32 v11, 30, v72
	v_mov_b32_e32 v10, v9
	v_cmp_gt_i64_e32 vcc, 0, v[10:11]
	v_not_b32_e32 v10, v11
	v_ashrrev_i32_e32 v10, 31, v10
	v_and_b32_e32 v8, exec_hi, v8
	v_xor_b32_e32 v11, vcc_hi, v10
	v_xor_b32_e32 v10, vcc_lo, v10
	v_and_b32_e32 v8, v8, v11
	v_and_b32_e32 v73, v73, v10
	v_lshlrev_b32_e32 v11, 29, v72
	v_mov_b32_e32 v10, v9
	v_cmp_gt_i64_e32 vcc, 0, v[10:11]
	v_not_b32_e32 v10, v11
	v_ashrrev_i32_e32 v10, 31, v10
	v_xor_b32_e32 v11, vcc_hi, v10
	v_xor_b32_e32 v10, vcc_lo, v10
	v_and_b32_e32 v8, v8, v11
	v_and_b32_e32 v73, v73, v10
	v_lshlrev_b32_e32 v11, 28, v72
	v_mov_b32_e32 v10, v9
	v_cmp_gt_i64_e32 vcc, 0, v[10:11]
	v_not_b32_e32 v10, v11
	v_ashrrev_i32_e32 v10, 31, v10
	;; [unrolled: 9-line block ×6, first 2 shown]
	v_xor_b32_e32 v11, vcc_hi, v10
	v_xor_b32_e32 v10, vcc_lo, v10
	ds_read_b32 v70, v71 offset:16
	v_and_b32_e32 v10, v73, v10
	v_and_b32_e32 v11, v8, v11
	v_mbcnt_lo_u32_b32 v8, v10, 0
	v_mbcnt_hi_u32_b32 v72, v11, v8
	v_cmp_eq_u32_e32 vcc, 0, v72
	v_cmp_ne_u64_e64 s[48:49], 0, v[10:11]
	s_and_b64 s[48:49], s[48:49], vcc
	; wave barrier
	s_and_saveexec_b64 s[10:11], s[48:49]
	s_cbranch_execz .LBB15_71
; %bb.70:
	v_bcnt_u32_b32 v8, v10, 0
	v_bcnt_u32_b32 v8, v11, v8
	s_waitcnt lgkmcnt(0)
	v_add_u32_e32 v8, v70, v8
	ds_write_b32 v71, v8 offset:16
.LBB15_71:
	s_or_b64 exec, exec, s[10:11]
	v_lshrrev_b32_e32 v8, s8, v23
	v_and_b32_e32 v75, s33, v8
	v_mul_lo_u32 v8, v75, 20
	v_lshl_add_u32 v74, v43, 2, v8
	v_and_b32_e32 v8, 1, v75
	v_lshl_add_u64 v[10:11], v[8:9], 0, -1
	v_cmp_ne_u32_e32 vcc, 0, v8
	; wave barrier
	s_nop 1
	v_xor_b32_e32 v10, vcc_lo, v10
	v_xor_b32_e32 v8, vcc_hi, v11
	v_and_b32_e32 v76, exec_lo, v10
	v_lshlrev_b32_e32 v11, 30, v75
	v_mov_b32_e32 v10, v9
	v_cmp_gt_i64_e32 vcc, 0, v[10:11]
	v_not_b32_e32 v10, v11
	v_ashrrev_i32_e32 v10, 31, v10
	v_and_b32_e32 v8, exec_hi, v8
	v_xor_b32_e32 v11, vcc_hi, v10
	v_xor_b32_e32 v10, vcc_lo, v10
	v_and_b32_e32 v8, v8, v11
	v_and_b32_e32 v76, v76, v10
	v_lshlrev_b32_e32 v11, 29, v75
	v_mov_b32_e32 v10, v9
	v_cmp_gt_i64_e32 vcc, 0, v[10:11]
	v_not_b32_e32 v10, v11
	v_ashrrev_i32_e32 v10, 31, v10
	v_xor_b32_e32 v11, vcc_hi, v10
	v_xor_b32_e32 v10, vcc_lo, v10
	v_and_b32_e32 v8, v8, v11
	v_and_b32_e32 v76, v76, v10
	v_lshlrev_b32_e32 v11, 28, v75
	v_mov_b32_e32 v10, v9
	v_cmp_gt_i64_e32 vcc, 0, v[10:11]
	v_not_b32_e32 v10, v11
	v_ashrrev_i32_e32 v10, 31, v10
	;; [unrolled: 9-line block ×5, first 2 shown]
	v_xor_b32_e32 v11, vcc_hi, v10
	v_xor_b32_e32 v10, vcc_lo, v10
	v_and_b32_e32 v8, v8, v11
	v_lshlrev_b32_e32 v11, 24, v75
	v_and_b32_e32 v76, v76, v10
	v_mov_b32_e32 v10, v9
	v_not_b32_e32 v9, v11
	v_cmp_gt_i64_e32 vcc, 0, v[10:11]
	v_ashrrev_i32_e32 v9, 31, v9
	ds_read_b32 v73, v74 offset:16
	v_xor_b32_e32 v10, vcc_hi, v9
	v_xor_b32_e32 v11, vcc_lo, v9
	v_and_b32_e32 v9, v8, v10
	v_and_b32_e32 v8, v76, v11
	v_mbcnt_lo_u32_b32 v10, v8, 0
	v_mbcnt_hi_u32_b32 v75, v9, v10
	v_cmp_eq_u32_e32 vcc, 0, v75
	v_cmp_ne_u64_e64 s[48:49], 0, v[8:9]
	s_and_b64 s[48:49], s[48:49], vcc
	; wave barrier
	s_and_saveexec_b64 s[10:11], s[48:49]
	s_cbranch_execz .LBB15_73
; %bb.72:
	v_bcnt_u32_b32 v8, v8, 0
	v_bcnt_u32_b32 v8, v9, v8
	s_waitcnt lgkmcnt(0)
	v_add_u32_e32 v8, v73, v8
	ds_write_b32 v74, v8 offset:16
.LBB15_73:
	s_or_b64 exec, exec, s[10:11]
	v_lshrrev_b32_e32 v8, s8, v26
	v_and_b32_e32 v78, s33, v8
	v_mul_lo_u32 v8, v78, 20
	v_lshl_add_u32 v77, v43, 2, v8
	v_and_b32_e32 v8, 1, v78
	v_mov_b32_e32 v9, 0
	v_lshl_add_u64 v[10:11], v[8:9], 0, -1
	v_cmp_ne_u32_e32 vcc, 0, v8
	; wave barrier
	s_nop 1
	v_xor_b32_e32 v10, vcc_lo, v10
	v_xor_b32_e32 v8, vcc_hi, v11
	v_and_b32_e32 v79, exec_lo, v10
	v_lshlrev_b32_e32 v11, 30, v78
	v_mov_b32_e32 v10, v9
	v_cmp_gt_i64_e32 vcc, 0, v[10:11]
	v_not_b32_e32 v10, v11
	v_ashrrev_i32_e32 v10, 31, v10
	v_and_b32_e32 v8, exec_hi, v8
	v_xor_b32_e32 v11, vcc_hi, v10
	v_xor_b32_e32 v10, vcc_lo, v10
	v_and_b32_e32 v8, v8, v11
	v_and_b32_e32 v79, v79, v10
	v_lshlrev_b32_e32 v11, 29, v78
	v_mov_b32_e32 v10, v9
	v_cmp_gt_i64_e32 vcc, 0, v[10:11]
	v_not_b32_e32 v10, v11
	v_ashrrev_i32_e32 v10, 31, v10
	v_xor_b32_e32 v11, vcc_hi, v10
	v_xor_b32_e32 v10, vcc_lo, v10
	v_and_b32_e32 v8, v8, v11
	v_and_b32_e32 v79, v79, v10
	v_lshlrev_b32_e32 v11, 28, v78
	v_mov_b32_e32 v10, v9
	v_cmp_gt_i64_e32 vcc, 0, v[10:11]
	v_not_b32_e32 v10, v11
	v_ashrrev_i32_e32 v10, 31, v10
	;; [unrolled: 9-line block ×6, first 2 shown]
	v_xor_b32_e32 v11, vcc_hi, v10
	v_xor_b32_e32 v10, vcc_lo, v10
	ds_read_b32 v76, v77 offset:16
	v_and_b32_e32 v10, v79, v10
	v_and_b32_e32 v11, v8, v11
	v_mbcnt_lo_u32_b32 v8, v10, 0
	v_mbcnt_hi_u32_b32 v78, v11, v8
	v_cmp_eq_u32_e32 vcc, 0, v78
	v_cmp_ne_u64_e64 s[48:49], 0, v[10:11]
	s_and_b64 s[48:49], s[48:49], vcc
	; wave barrier
	s_and_saveexec_b64 s[10:11], s[48:49]
	s_cbranch_execz .LBB15_75
; %bb.74:
	v_bcnt_u32_b32 v8, v10, 0
	v_bcnt_u32_b32 v8, v11, v8
	s_waitcnt lgkmcnt(0)
	v_add_u32_e32 v8, v76, v8
	ds_write_b32 v77, v8 offset:16
.LBB15_75:
	s_or_b64 exec, exec, s[10:11]
	v_lshrrev_b32_e32 v8, s8, v25
	v_and_b32_e32 v81, s33, v8
	v_mul_lo_u32 v8, v81, 20
	v_lshl_add_u32 v80, v43, 2, v8
	v_and_b32_e32 v8, 1, v81
	v_lshl_add_u64 v[10:11], v[8:9], 0, -1
	v_cmp_ne_u32_e32 vcc, 0, v8
	; wave barrier
	s_nop 1
	v_xor_b32_e32 v10, vcc_lo, v10
	v_xor_b32_e32 v8, vcc_hi, v11
	v_and_b32_e32 v82, exec_lo, v10
	v_lshlrev_b32_e32 v11, 30, v81
	v_mov_b32_e32 v10, v9
	v_cmp_gt_i64_e32 vcc, 0, v[10:11]
	v_not_b32_e32 v10, v11
	v_ashrrev_i32_e32 v10, 31, v10
	v_and_b32_e32 v8, exec_hi, v8
	v_xor_b32_e32 v11, vcc_hi, v10
	v_xor_b32_e32 v10, vcc_lo, v10
	v_and_b32_e32 v8, v8, v11
	v_and_b32_e32 v82, v82, v10
	v_lshlrev_b32_e32 v11, 29, v81
	v_mov_b32_e32 v10, v9
	v_cmp_gt_i64_e32 vcc, 0, v[10:11]
	v_not_b32_e32 v10, v11
	v_ashrrev_i32_e32 v10, 31, v10
	v_xor_b32_e32 v11, vcc_hi, v10
	v_xor_b32_e32 v10, vcc_lo, v10
	v_and_b32_e32 v8, v8, v11
	v_and_b32_e32 v82, v82, v10
	v_lshlrev_b32_e32 v11, 28, v81
	v_mov_b32_e32 v10, v9
	v_cmp_gt_i64_e32 vcc, 0, v[10:11]
	v_not_b32_e32 v10, v11
	v_ashrrev_i32_e32 v10, 31, v10
	;; [unrolled: 9-line block ×5, first 2 shown]
	v_xor_b32_e32 v11, vcc_hi, v10
	v_xor_b32_e32 v10, vcc_lo, v10
	v_and_b32_e32 v8, v8, v11
	v_lshlrev_b32_e32 v11, 24, v81
	v_and_b32_e32 v82, v82, v10
	v_mov_b32_e32 v10, v9
	v_not_b32_e32 v9, v11
	v_cmp_gt_i64_e32 vcc, 0, v[10:11]
	v_ashrrev_i32_e32 v9, 31, v9
	ds_read_b32 v79, v80 offset:16
	v_xor_b32_e32 v10, vcc_hi, v9
	v_xor_b32_e32 v11, vcc_lo, v9
	v_and_b32_e32 v9, v8, v10
	v_and_b32_e32 v8, v82, v11
	v_mbcnt_lo_u32_b32 v10, v8, 0
	v_mbcnt_hi_u32_b32 v81, v9, v10
	v_cmp_eq_u32_e32 vcc, 0, v81
	v_cmp_ne_u64_e64 s[48:49], 0, v[8:9]
	s_and_b64 s[48:49], s[48:49], vcc
	; wave barrier
	s_and_saveexec_b64 s[10:11], s[48:49]
	s_cbranch_execz .LBB15_77
; %bb.76:
	v_bcnt_u32_b32 v8, v8, 0
	v_bcnt_u32_b32 v8, v9, v8
	s_waitcnt lgkmcnt(0)
	v_add_u32_e32 v8, v79, v8
	ds_write_b32 v80, v8 offset:16
.LBB15_77:
	s_or_b64 exec, exec, s[10:11]
	v_lshrrev_b32_e32 v8, s8, v28
	v_and_b32_e32 v84, s33, v8
	v_mul_lo_u32 v8, v84, 20
	v_lshl_add_u32 v83, v43, 2, v8
	v_and_b32_e32 v8, 1, v84
	v_mov_b32_e32 v9, 0
	v_lshl_add_u64 v[10:11], v[8:9], 0, -1
	v_cmp_ne_u32_e32 vcc, 0, v8
	; wave barrier
	s_nop 1
	v_xor_b32_e32 v10, vcc_lo, v10
	v_xor_b32_e32 v8, vcc_hi, v11
	v_and_b32_e32 v85, exec_lo, v10
	v_lshlrev_b32_e32 v11, 30, v84
	v_mov_b32_e32 v10, v9
	v_cmp_gt_i64_e32 vcc, 0, v[10:11]
	v_not_b32_e32 v10, v11
	v_ashrrev_i32_e32 v10, 31, v10
	v_and_b32_e32 v8, exec_hi, v8
	v_xor_b32_e32 v11, vcc_hi, v10
	v_xor_b32_e32 v10, vcc_lo, v10
	v_and_b32_e32 v8, v8, v11
	v_and_b32_e32 v85, v85, v10
	v_lshlrev_b32_e32 v11, 29, v84
	v_mov_b32_e32 v10, v9
	v_cmp_gt_i64_e32 vcc, 0, v[10:11]
	v_not_b32_e32 v10, v11
	v_ashrrev_i32_e32 v10, 31, v10
	v_xor_b32_e32 v11, vcc_hi, v10
	v_xor_b32_e32 v10, vcc_lo, v10
	v_and_b32_e32 v8, v8, v11
	v_and_b32_e32 v85, v85, v10
	v_lshlrev_b32_e32 v11, 28, v84
	v_mov_b32_e32 v10, v9
	v_cmp_gt_i64_e32 vcc, 0, v[10:11]
	v_not_b32_e32 v10, v11
	v_ashrrev_i32_e32 v10, 31, v10
	;; [unrolled: 9-line block ×6, first 2 shown]
	v_xor_b32_e32 v11, vcc_hi, v10
	v_xor_b32_e32 v10, vcc_lo, v10
	ds_read_b32 v82, v83 offset:16
	v_and_b32_e32 v10, v85, v10
	v_and_b32_e32 v11, v8, v11
	v_mbcnt_lo_u32_b32 v8, v10, 0
	v_mbcnt_hi_u32_b32 v84, v11, v8
	v_cmp_eq_u32_e32 vcc, 0, v84
	v_cmp_ne_u64_e64 s[48:49], 0, v[10:11]
	s_and_b64 s[48:49], s[48:49], vcc
	; wave barrier
	s_and_saveexec_b64 s[10:11], s[48:49]
	s_cbranch_execz .LBB15_79
; %bb.78:
	v_bcnt_u32_b32 v8, v10, 0
	v_bcnt_u32_b32 v8, v11, v8
	s_waitcnt lgkmcnt(0)
	v_add_u32_e32 v8, v82, v8
	ds_write_b32 v83, v8 offset:16
.LBB15_79:
	s_or_b64 exec, exec, s[10:11]
	v_lshrrev_b32_e32 v8, s8, v27
	v_and_b32_e32 v87, s33, v8
	v_mul_lo_u32 v8, v87, 20
	v_lshl_add_u32 v86, v43, 2, v8
	v_and_b32_e32 v8, 1, v87
	v_lshl_add_u64 v[10:11], v[8:9], 0, -1
	v_cmp_ne_u32_e32 vcc, 0, v8
	; wave barrier
	s_nop 1
	v_xor_b32_e32 v10, vcc_lo, v10
	v_xor_b32_e32 v8, vcc_hi, v11
	v_and_b32_e32 v88, exec_lo, v10
	v_lshlrev_b32_e32 v11, 30, v87
	v_mov_b32_e32 v10, v9
	v_cmp_gt_i64_e32 vcc, 0, v[10:11]
	v_not_b32_e32 v10, v11
	v_ashrrev_i32_e32 v10, 31, v10
	v_and_b32_e32 v8, exec_hi, v8
	v_xor_b32_e32 v11, vcc_hi, v10
	v_xor_b32_e32 v10, vcc_lo, v10
	v_and_b32_e32 v8, v8, v11
	v_and_b32_e32 v88, v88, v10
	v_lshlrev_b32_e32 v11, 29, v87
	v_mov_b32_e32 v10, v9
	v_cmp_gt_i64_e32 vcc, 0, v[10:11]
	v_not_b32_e32 v10, v11
	v_ashrrev_i32_e32 v10, 31, v10
	v_xor_b32_e32 v11, vcc_hi, v10
	v_xor_b32_e32 v10, vcc_lo, v10
	v_and_b32_e32 v8, v8, v11
	v_and_b32_e32 v88, v88, v10
	v_lshlrev_b32_e32 v11, 28, v87
	v_mov_b32_e32 v10, v9
	v_cmp_gt_i64_e32 vcc, 0, v[10:11]
	v_not_b32_e32 v10, v11
	v_ashrrev_i32_e32 v10, 31, v10
	;; [unrolled: 9-line block ×5, first 2 shown]
	v_xor_b32_e32 v11, vcc_hi, v10
	v_xor_b32_e32 v10, vcc_lo, v10
	v_and_b32_e32 v8, v8, v11
	v_lshlrev_b32_e32 v11, 24, v87
	v_and_b32_e32 v88, v88, v10
	v_mov_b32_e32 v10, v9
	v_not_b32_e32 v9, v11
	v_cmp_gt_i64_e32 vcc, 0, v[10:11]
	v_ashrrev_i32_e32 v9, 31, v9
	ds_read_b32 v85, v86 offset:16
	v_xor_b32_e32 v10, vcc_hi, v9
	v_xor_b32_e32 v11, vcc_lo, v9
	v_and_b32_e32 v9, v8, v10
	v_and_b32_e32 v8, v88, v11
	v_mbcnt_lo_u32_b32 v10, v8, 0
	v_mbcnt_hi_u32_b32 v87, v9, v10
	v_cmp_eq_u32_e32 vcc, 0, v87
	v_cmp_ne_u64_e64 s[48:49], 0, v[8:9]
	s_and_b64 s[48:49], s[48:49], vcc
	; wave barrier
	s_and_saveexec_b64 s[10:11], s[48:49]
	s_cbranch_execz .LBB15_81
; %bb.80:
	v_bcnt_u32_b32 v8, v8, 0
	v_bcnt_u32_b32 v8, v9, v8
	s_waitcnt lgkmcnt(0)
	v_add_u32_e32 v8, v85, v8
	ds_write_b32 v86, v8 offset:16
.LBB15_81:
	s_or_b64 exec, exec, s[10:11]
	v_lshrrev_b32_e32 v8, s8, v30
	v_and_b32_e32 v90, s33, v8
	v_mul_lo_u32 v8, v90, 20
	v_lshl_add_u32 v89, v43, 2, v8
	v_and_b32_e32 v8, 1, v90
	v_mov_b32_e32 v9, 0
	v_lshl_add_u64 v[10:11], v[8:9], 0, -1
	v_cmp_ne_u32_e32 vcc, 0, v8
	; wave barrier
	s_nop 1
	v_xor_b32_e32 v10, vcc_lo, v10
	v_xor_b32_e32 v8, vcc_hi, v11
	v_and_b32_e32 v91, exec_lo, v10
	v_lshlrev_b32_e32 v11, 30, v90
	v_mov_b32_e32 v10, v9
	v_cmp_gt_i64_e32 vcc, 0, v[10:11]
	v_not_b32_e32 v10, v11
	v_ashrrev_i32_e32 v10, 31, v10
	v_and_b32_e32 v8, exec_hi, v8
	v_xor_b32_e32 v11, vcc_hi, v10
	v_xor_b32_e32 v10, vcc_lo, v10
	v_and_b32_e32 v8, v8, v11
	v_and_b32_e32 v91, v91, v10
	v_lshlrev_b32_e32 v11, 29, v90
	v_mov_b32_e32 v10, v9
	v_cmp_gt_i64_e32 vcc, 0, v[10:11]
	v_not_b32_e32 v10, v11
	v_ashrrev_i32_e32 v10, 31, v10
	v_xor_b32_e32 v11, vcc_hi, v10
	v_xor_b32_e32 v10, vcc_lo, v10
	v_and_b32_e32 v8, v8, v11
	v_and_b32_e32 v91, v91, v10
	v_lshlrev_b32_e32 v11, 28, v90
	v_mov_b32_e32 v10, v9
	v_cmp_gt_i64_e32 vcc, 0, v[10:11]
	v_not_b32_e32 v10, v11
	v_ashrrev_i32_e32 v10, 31, v10
	;; [unrolled: 9-line block ×6, first 2 shown]
	v_xor_b32_e32 v11, vcc_hi, v10
	v_xor_b32_e32 v10, vcc_lo, v10
	ds_read_b32 v88, v89 offset:16
	v_and_b32_e32 v10, v91, v10
	v_and_b32_e32 v11, v8, v11
	v_mbcnt_lo_u32_b32 v8, v10, 0
	v_mbcnt_hi_u32_b32 v90, v11, v8
	v_cmp_eq_u32_e32 vcc, 0, v90
	v_cmp_ne_u64_e64 s[48:49], 0, v[10:11]
	s_and_b64 s[48:49], s[48:49], vcc
	; wave barrier
	s_and_saveexec_b64 s[10:11], s[48:49]
	s_cbranch_execz .LBB15_83
; %bb.82:
	v_bcnt_u32_b32 v8, v10, 0
	v_bcnt_u32_b32 v8, v11, v8
	s_waitcnt lgkmcnt(0)
	v_add_u32_e32 v8, v88, v8
	ds_write_b32 v89, v8 offset:16
.LBB15_83:
	s_or_b64 exec, exec, s[10:11]
	v_lshrrev_b32_e32 v8, s8, v29
	v_and_b32_e32 v93, s33, v8
	v_mul_lo_u32 v8, v93, 20
	v_lshl_add_u32 v92, v43, 2, v8
	v_and_b32_e32 v8, 1, v93
	v_lshl_add_u64 v[10:11], v[8:9], 0, -1
	v_cmp_ne_u32_e32 vcc, 0, v8
	; wave barrier
	s_nop 1
	v_xor_b32_e32 v10, vcc_lo, v10
	v_xor_b32_e32 v8, vcc_hi, v11
	v_and_b32_e32 v94, exec_lo, v10
	v_lshlrev_b32_e32 v11, 30, v93
	v_mov_b32_e32 v10, v9
	v_cmp_gt_i64_e32 vcc, 0, v[10:11]
	v_not_b32_e32 v10, v11
	v_ashrrev_i32_e32 v10, 31, v10
	v_and_b32_e32 v8, exec_hi, v8
	v_xor_b32_e32 v11, vcc_hi, v10
	v_xor_b32_e32 v10, vcc_lo, v10
	v_and_b32_e32 v8, v8, v11
	v_and_b32_e32 v94, v94, v10
	v_lshlrev_b32_e32 v11, 29, v93
	v_mov_b32_e32 v10, v9
	v_cmp_gt_i64_e32 vcc, 0, v[10:11]
	v_not_b32_e32 v10, v11
	v_ashrrev_i32_e32 v10, 31, v10
	v_xor_b32_e32 v11, vcc_hi, v10
	v_xor_b32_e32 v10, vcc_lo, v10
	v_and_b32_e32 v8, v8, v11
	v_and_b32_e32 v94, v94, v10
	v_lshlrev_b32_e32 v11, 28, v93
	v_mov_b32_e32 v10, v9
	v_cmp_gt_i64_e32 vcc, 0, v[10:11]
	v_not_b32_e32 v10, v11
	v_ashrrev_i32_e32 v10, 31, v10
	;; [unrolled: 9-line block ×5, first 2 shown]
	v_xor_b32_e32 v11, vcc_hi, v10
	v_xor_b32_e32 v10, vcc_lo, v10
	v_and_b32_e32 v8, v8, v11
	v_lshlrev_b32_e32 v11, 24, v93
	v_and_b32_e32 v94, v94, v10
	v_mov_b32_e32 v10, v9
	v_not_b32_e32 v9, v11
	v_cmp_gt_i64_e32 vcc, 0, v[10:11]
	v_ashrrev_i32_e32 v9, 31, v9
	ds_read_b32 v91, v92 offset:16
	v_xor_b32_e32 v10, vcc_hi, v9
	v_xor_b32_e32 v11, vcc_lo, v9
	v_and_b32_e32 v9, v8, v10
	v_and_b32_e32 v8, v94, v11
	v_mbcnt_lo_u32_b32 v10, v8, 0
	v_mbcnt_hi_u32_b32 v93, v9, v10
	v_cmp_eq_u32_e32 vcc, 0, v93
	v_cmp_ne_u64_e64 s[48:49], 0, v[8:9]
	s_and_b64 s[48:49], s[48:49], vcc
	; wave barrier
	s_and_saveexec_b64 s[10:11], s[48:49]
	s_cbranch_execz .LBB15_85
; %bb.84:
	v_bcnt_u32_b32 v8, v8, 0
	v_bcnt_u32_b32 v8, v9, v8
	s_waitcnt lgkmcnt(0)
	v_add_u32_e32 v8, v91, v8
	ds_write_b32 v92, v8 offset:16
.LBB15_85:
	s_or_b64 exec, exec, s[10:11]
	v_lshrrev_b32_e32 v8, s8, v32
	v_and_b32_e32 v96, s33, v8
	v_mul_lo_u32 v8, v96, 20
	v_lshl_add_u32 v95, v43, 2, v8
	v_and_b32_e32 v8, 1, v96
	v_mov_b32_e32 v9, 0
	v_lshl_add_u64 v[10:11], v[8:9], 0, -1
	v_cmp_ne_u32_e32 vcc, 0, v8
	; wave barrier
	s_nop 1
	v_xor_b32_e32 v10, vcc_lo, v10
	v_xor_b32_e32 v8, vcc_hi, v11
	v_and_b32_e32 v97, exec_lo, v10
	v_lshlrev_b32_e32 v11, 30, v96
	v_mov_b32_e32 v10, v9
	v_cmp_gt_i64_e32 vcc, 0, v[10:11]
	v_not_b32_e32 v10, v11
	v_ashrrev_i32_e32 v10, 31, v10
	v_and_b32_e32 v8, exec_hi, v8
	v_xor_b32_e32 v11, vcc_hi, v10
	v_xor_b32_e32 v10, vcc_lo, v10
	v_and_b32_e32 v8, v8, v11
	v_and_b32_e32 v97, v97, v10
	v_lshlrev_b32_e32 v11, 29, v96
	v_mov_b32_e32 v10, v9
	v_cmp_gt_i64_e32 vcc, 0, v[10:11]
	v_not_b32_e32 v10, v11
	v_ashrrev_i32_e32 v10, 31, v10
	v_xor_b32_e32 v11, vcc_hi, v10
	v_xor_b32_e32 v10, vcc_lo, v10
	v_and_b32_e32 v8, v8, v11
	v_and_b32_e32 v97, v97, v10
	v_lshlrev_b32_e32 v11, 28, v96
	v_mov_b32_e32 v10, v9
	v_cmp_gt_i64_e32 vcc, 0, v[10:11]
	v_not_b32_e32 v10, v11
	v_ashrrev_i32_e32 v10, 31, v10
	;; [unrolled: 9-line block ×6, first 2 shown]
	v_xor_b32_e32 v11, vcc_hi, v10
	v_xor_b32_e32 v10, vcc_lo, v10
	ds_read_b32 v94, v95 offset:16
	v_and_b32_e32 v10, v97, v10
	v_and_b32_e32 v11, v8, v11
	v_mbcnt_lo_u32_b32 v8, v10, 0
	v_mbcnt_hi_u32_b32 v96, v11, v8
	v_cmp_eq_u32_e32 vcc, 0, v96
	v_cmp_ne_u64_e64 s[48:49], 0, v[10:11]
	s_and_b64 s[48:49], s[48:49], vcc
	; wave barrier
	s_and_saveexec_b64 s[10:11], s[48:49]
	s_cbranch_execz .LBB15_87
; %bb.86:
	v_bcnt_u32_b32 v8, v10, 0
	v_bcnt_u32_b32 v8, v11, v8
	s_waitcnt lgkmcnt(0)
	v_add_u32_e32 v8, v94, v8
	ds_write_b32 v95, v8 offset:16
.LBB15_87:
	s_or_b64 exec, exec, s[10:11]
	v_lshrrev_b32_e32 v8, s8, v31
	v_and_b32_e32 v98, s33, v8
	v_mul_lo_u32 v8, v98, 20
	v_lshl_add_u32 v43, v43, 2, v8
	v_and_b32_e32 v8, 1, v98
	v_lshl_add_u64 v[10:11], v[8:9], 0, -1
	v_cmp_ne_u32_e32 vcc, 0, v8
	; wave barrier
	s_nop 1
	v_xor_b32_e32 v10, vcc_lo, v10
	v_xor_b32_e32 v8, vcc_hi, v11
	v_and_b32_e32 v99, exec_lo, v10
	v_lshlrev_b32_e32 v11, 30, v98
	v_mov_b32_e32 v10, v9
	v_cmp_gt_i64_e32 vcc, 0, v[10:11]
	v_not_b32_e32 v10, v11
	v_ashrrev_i32_e32 v10, 31, v10
	v_and_b32_e32 v8, exec_hi, v8
	v_xor_b32_e32 v11, vcc_hi, v10
	v_xor_b32_e32 v10, vcc_lo, v10
	v_and_b32_e32 v8, v8, v11
	v_and_b32_e32 v99, v99, v10
	v_lshlrev_b32_e32 v11, 29, v98
	v_mov_b32_e32 v10, v9
	v_cmp_gt_i64_e32 vcc, 0, v[10:11]
	v_not_b32_e32 v10, v11
	v_ashrrev_i32_e32 v10, 31, v10
	v_xor_b32_e32 v11, vcc_hi, v10
	v_xor_b32_e32 v10, vcc_lo, v10
	v_and_b32_e32 v8, v8, v11
	v_and_b32_e32 v99, v99, v10
	v_lshlrev_b32_e32 v11, 28, v98
	v_mov_b32_e32 v10, v9
	v_cmp_gt_i64_e32 vcc, 0, v[10:11]
	v_not_b32_e32 v10, v11
	v_ashrrev_i32_e32 v10, 31, v10
	;; [unrolled: 9-line block ×5, first 2 shown]
	v_xor_b32_e32 v11, vcc_hi, v10
	v_xor_b32_e32 v10, vcc_lo, v10
	v_and_b32_e32 v8, v8, v11
	v_lshlrev_b32_e32 v11, 24, v98
	v_and_b32_e32 v99, v99, v10
	v_mov_b32_e32 v10, v9
	v_not_b32_e32 v9, v11
	v_cmp_gt_i64_e32 vcc, 0, v[10:11]
	v_ashrrev_i32_e32 v9, 31, v9
	ds_read_b32 v97, v43 offset:16
	v_xor_b32_e32 v10, vcc_hi, v9
	v_xor_b32_e32 v11, vcc_lo, v9
	v_and_b32_e32 v9, v8, v10
	v_and_b32_e32 v8, v99, v11
	v_mbcnt_lo_u32_b32 v10, v8, 0
	v_mbcnt_hi_u32_b32 v98, v9, v10
	v_cmp_eq_u32_e32 vcc, 0, v98
	v_cmp_ne_u64_e64 s[48:49], 0, v[8:9]
	s_and_b64 s[48:49], s[48:49], vcc
	; wave barrier
	s_and_saveexec_b64 s[10:11], s[48:49]
	s_cbranch_execz .LBB15_89
; %bb.88:
	v_bcnt_u32_b32 v8, v8, 0
	v_bcnt_u32_b32 v8, v9, v8
	s_waitcnt lgkmcnt(0)
	v_add_u32_e32 v8, v97, v8
	ds_write_b32 v43, v8 offset:16
.LBB15_89:
	s_or_b64 exec, exec, s[10:11]
	; wave barrier
	s_waitcnt lgkmcnt(0)
	s_barrier
	ds_read2_b32 v[10:11], v33 offset0:4 offset1:5
	ds_read2_b32 v[8:9], v33 offset0:6 offset1:7
	ds_read_b32 v99, v33 offset:32
	v_min_u32_e32 v7, 0xc0, v7
	v_or_b32_e32 v7, 63, v7
	s_waitcnt lgkmcnt(1)
	v_add3_u32 v100, v11, v10, v8
	s_waitcnt lgkmcnt(0)
	v_add3_u32 v99, v100, v9, v99
	v_and_b32_e32 v100, 15, v4
	v_cmp_ne_u32_e32 vcc, 0, v100
	v_mov_b32_dpp v101, v99 row_shr:1 row_mask:0xf bank_mask:0xf
	s_nop 0
	v_cndmask_b32_e32 v101, 0, v101, vcc
	v_add_u32_e32 v99, v101, v99
	v_cmp_lt_u32_e32 vcc, 1, v100
	s_nop 0
	v_mov_b32_dpp v101, v99 row_shr:2 row_mask:0xf bank_mask:0xf
	v_cndmask_b32_e32 v101, 0, v101, vcc
	v_add_u32_e32 v99, v99, v101
	v_cmp_lt_u32_e32 vcc, 3, v100
	s_nop 0
	v_mov_b32_dpp v101, v99 row_shr:4 row_mask:0xf bank_mask:0xf
	;; [unrolled: 5-line block ×3, first 2 shown]
	v_cndmask_b32_e32 v100, 0, v101, vcc
	v_add_u32_e32 v99, v99, v100
	v_bfe_i32 v101, v4, 4, 1
	v_cmp_lt_u32_e32 vcc, 31, v4
	v_mov_b32_dpp v100, v99 row_bcast:15 row_mask:0xf bank_mask:0xf
	v_and_b32_e32 v100, v101, v100
	v_add_u32_e32 v99, v99, v100
	s_nop 1
	v_mov_b32_dpp v100, v99 row_bcast:31 row_mask:0xf bank_mask:0xf
	v_cndmask_b32_e32 v100, 0, v100, vcc
	v_add_u32_e32 v99, v99, v100
	v_lshrrev_b32_e32 v100, 6, v2
	v_cmp_eq_u32_e32 vcc, v2, v7
	s_and_saveexec_b64 s[10:11], vcc
; %bb.90:
	v_lshlrev_b32_e32 v7, 2, v100
	ds_write_b32 v7, v99
; %bb.91:
	s_or_b64 exec, exec, s[10:11]
	v_cmp_gt_u32_e32 vcc, 4, v2
	s_waitcnt lgkmcnt(0)
	s_barrier
	s_and_saveexec_b64 s[10:11], vcc
	s_cbranch_execz .LBB15_93
; %bb.92:
	v_lshlrev_b32_e32 v7, 2, v2
	ds_read_b32 v101, v7
	v_and_b32_e32 v102, 3, v4
	v_cmp_ne_u32_e32 vcc, 0, v102
	s_waitcnt lgkmcnt(0)
	v_mov_b32_dpp v103, v101 row_shr:1 row_mask:0xf bank_mask:0xf
	v_cndmask_b32_e32 v103, 0, v103, vcc
	v_add_u32_e32 v101, v103, v101
	v_cmp_lt_u32_e32 vcc, 1, v102
	s_nop 0
	v_mov_b32_dpp v103, v101 row_shr:2 row_mask:0xf bank_mask:0xf
	v_cndmask_b32_e32 v102, 0, v103, vcc
	v_add_u32_e32 v101, v101, v102
	ds_write_b32 v7, v101
.LBB15_93:
	s_or_b64 exec, exec, s[10:11]
	v_cmp_lt_u32_e32 vcc, 63, v2
	v_mov_b32_e32 v7, 0
	s_waitcnt lgkmcnt(0)
	s_barrier
	s_and_saveexec_b64 s[10:11], vcc
; %bb.94:
	v_lshl_add_u32 v7, v100, 2, -4
	ds_read_b32 v7, v7
; %bb.95:
	s_or_b64 exec, exec, s[10:11]
	v_add_u32_e32 v100, -1, v4
	v_and_b32_e32 v101, 64, v4
	v_cmp_lt_i32_e32 vcc, v100, v101
	s_waitcnt lgkmcnt(0)
	v_add_u32_e32 v99, v7, v99
	s_movk_i32 s4, 0x100
	v_cndmask_b32_e32 v100, v100, v4, vcc
	v_lshlrev_b32_e32 v100, 2, v100
	ds_bpermute_b32 v99, v100, v99
	v_cmp_eq_u32_e32 vcc, 0, v4
	s_waitcnt lgkmcnt(0)
	s_nop 0
	v_cndmask_b32_e32 v7, v99, v7, vcc
	v_cmp_ne_u32_e32 vcc, 0, v2
	s_nop 1
	v_cndmask_b32_e32 v7, 0, v7, vcc
	v_add_u32_e32 v10, v7, v10
	v_add_u32_e32 v11, v10, v11
	;; [unrolled: 1-line block ×4, first 2 shown]
	ds_write2_b32 v33, v7, v10 offset0:4 offset1:5
	ds_write2_b32 v33, v11, v8 offset0:6 offset1:7
	ds_write_b32 v33, v9 offset:32
	s_waitcnt lgkmcnt(0)
	s_barrier
	ds_read_b32 v10, v56 offset:16
	ds_read_b32 v11, v59 offset:16
	;; [unrolled: 1-line block ×23, first 2 shown]
	v_add_u32_e32 v7, 1, v2
	v_cmp_ne_u32_e32 vcc, s4, v7
	v_mov_b32_e32 v9, 0x1600
	s_and_saveexec_b64 s[10:11], vcc
; %bb.96:
	v_mul_u32_u24_e32 v7, 20, v7
	ds_read_b32 v9, v7 offset:16
; %bb.97:
	s_or_b64 exec, exec, s[10:11]
	s_waitcnt lgkmcnt(7)
	v_add_u32_e32 v33, v35, v34
	s_waitcnt lgkmcnt(6)
	v_add3_u32 v34, v38, v36, v37
	s_waitcnt lgkmcnt(5)
	v_add3_u32 v35, v41, v39, v40
	v_add3_u32 v40, v57, v55, v10
	v_lshlrev_b32_e32 v10, 2, v33
	s_waitcnt lgkmcnt(0)
	s_barrier
	ds_write_b32 v10, v12 offset:2048
	v_lshlrev_b32_e32 v10, 2, v34
	v_add3_u32 v36, v45, v42, v43
	ds_write_b32 v10, v3 offset:2048
	v_lshlrev_b32_e32 v3, 2, v35
	v_add3_u32 v37, v48, v46, v44
	;; [unrolled: 3-line block ×4, first 2 shown]
	ds_write_b32 v3, v16 offset:2048
	v_lshlrev_b32_e32 v3, 2, v38
	ds_write_b32 v3, v15 offset:2048
	v_lshlrev_b32_e32 v3, 2, v39
	v_add3_u32 v41, v60, v58, v11
	ds_write_b32 v3, v18 offset:2048
	v_lshlrev_b32_e32 v3, 2, v40
	v_add3_u32 v42, v63, v61, v56
	ds_write_b32 v3, v17 offset:2048
	v_lshlrev_b32_e32 v3, 2, v41
	v_add3_u32 v43, v66, v64, v59
	ds_write_b32 v3, v20 offset:2048
	v_lshlrev_b32_e32 v3, 2, v42
	v_add3_u32 v44, v69, v67, v62
	ds_write_b32 v3, v19 offset:2048
	v_lshlrev_b32_e32 v3, 2, v43
	v_add3_u32 v45, v72, v70, v65
	ds_write_b32 v3, v22 offset:2048
	v_lshlrev_b32_e32 v3, 2, v44
	v_add3_u32 v46, v75, v73, v68
	ds_write_b32 v3, v21 offset:2048
	v_lshlrev_b32_e32 v3, 2, v45
	v_add3_u32 v47, v78, v76, v71
	ds_write_b32 v3, v24 offset:2048
	v_lshlrev_b32_e32 v3, 2, v46
	v_add3_u32 v48, v81, v79, v74
	ds_write_b32 v3, v23 offset:2048
	v_lshlrev_b32_e32 v3, 2, v47
	v_add3_u32 v49, v84, v82, v77
	ds_write_b32 v3, v26 offset:2048
	v_lshlrev_b32_e32 v3, 2, v48
	v_add3_u32 v50, v87, v85, v80
	ds_write_b32 v3, v25 offset:2048
	v_lshlrev_b32_e32 v3, 2, v49
	v_add3_u32 v51, v90, v88, v83
	ds_write_b32 v3, v28 offset:2048
	v_lshlrev_b32_e32 v3, 2, v50
	v_add3_u32 v52, v93, v91, v86
	ds_write_b32 v3, v27 offset:2048
	v_lshlrev_b32_e32 v3, 2, v51
	v_add3_u32 v53, v96, v94, v89
	ds_write_b32 v3, v30 offset:2048
	v_lshlrev_b32_e32 v3, 2, v52
	v_add3_u32 v54, v98, v97, v92
	ds_write_b32 v3, v29 offset:2048
	v_lshlrev_b32_e32 v3, 2, v53
	ds_write_b32 v3, v32 offset:2048
	v_lshlrev_b32_e32 v3, 2, v54
	v_sub_u32_e32 v10, v9, v8
	v_lshl_add_u32 v14, s2, 8, v2
	v_mov_b32_e32 v15, 0
	v_mov_b32_e32 v7, v5
	ds_write_b32 v3, v31 offset:2048
	v_lshl_add_u64 v[12:13], v[14:15], 2, s[90:91]
	v_or_b32_e32 v3, 2.0, v10
	s_mov_b64 s[48:49], 0
	s_brev_b32 s52, -4
	s_mov_b32 s53, s3
	v_mov_b32_e32 v9, 0
	s_waitcnt lgkmcnt(0)
	s_barrier
	global_store_dword v[12:13], v3, off sc1
                                        ; implicit-def: $sgpr50_sgpr51
	s_branch .LBB15_100
.LBB15_98:                              ;   in Loop: Header=BB15_100 Depth=1
	s_or_b64 exec, exec, s[10:11]
.LBB15_99:                              ;   in Loop: Header=BB15_100 Depth=1
	s_or_b64 exec, exec, s[50:51]
	v_and_b32_e32 v11, 0x3fffffff, v3
	v_add_u32_e32 v9, v11, v9
	v_cmp_gt_i32_e64 s[50:51], -2.0, v3
	s_and_b64 s[10:11], exec, s[50:51]
	s_or_b64 s[48:49], s[10:11], s[48:49]
	s_andn2_b64 exec, exec, s[48:49]
	s_cbranch_execz .LBB15_105
.LBB15_100:                             ; =>This Loop Header: Depth=1
                                        ;     Child Loop BB15_103 Depth 2
	s_or_b64 s[50:51], s[50:51], exec
	s_cmp_eq_u32 s53, 0
	s_cbranch_scc1 .LBB15_104
; %bb.101:                              ;   in Loop: Header=BB15_100 Depth=1
	s_add_i32 s53, s53, -1
	v_lshl_add_u32 v14, s53, 8, v2
	v_lshl_add_u64 v[16:17], v[14:15], 2, s[90:91]
	global_load_dword v3, v[16:17], off sc1
	s_waitcnt vmcnt(0)
	v_cmp_gt_u32_e32 vcc, 2.0, v3
	s_and_saveexec_b64 s[50:51], vcc
	s_cbranch_execz .LBB15_99
; %bb.102:                              ;   in Loop: Header=BB15_100 Depth=1
	s_mov_b64 s[10:11], 0
.LBB15_103:                             ;   Parent Loop BB15_100 Depth=1
                                        ; =>  This Inner Loop Header: Depth=2
	global_load_dword v3, v[16:17], off sc1
	s_waitcnt vmcnt(0)
	v_cmp_lt_u32_e32 vcc, s52, v3
	s_or_b64 s[10:11], vcc, s[10:11]
	s_andn2_b64 exec, exec, s[10:11]
	s_cbranch_execnz .LBB15_103
	s_branch .LBB15_98
.LBB15_104:                             ;   in Loop: Header=BB15_100 Depth=1
                                        ; implicit-def: $sgpr53
	s_and_b64 s[10:11], exec, s[50:51]
	s_or_b64 s[48:49], s[10:11], s[48:49]
	s_andn2_b64 exec, exec, s[48:49]
	s_cbranch_execnz .LBB15_100
.LBB15_105:
	s_or_b64 exec, exec, s[48:49]
	s_load_dwordx4 s[48:51], s[0:1], 0x28
	v_add_u32_e32 v3, v9, v10
	v_or_b32_e32 v3, 0x80000000, v3
	v_lshlrev_b32_e32 v11, 3, v2
	global_store_dword v[12:13], v3, off sc1
	s_waitcnt lgkmcnt(0)
	global_load_dwordx2 v[12:13], v11, s[48:49]
	v_sub_co_u32_e32 v14, vcc, v9, v8
	v_mov_b32_e32 v3, 0
	s_nop 0
	v_subb_co_u32_e64 v15, s[10:11], 0, 0, vcc
	v_mov_b32_e32 v9, v3
	v_cmp_gt_u32_e32 vcc, s7, v2
	s_waitcnt vmcnt(0)
	v_lshl_add_u64 v[12:13], v[14:15], 0, v[12:13]
	ds_write_b64 v11, v[12:13]
	s_waitcnt lgkmcnt(0)
	s_barrier
	s_and_saveexec_b64 s[48:49], vcc
	s_cbranch_execz .LBB15_107
; %bb.106:
	v_lshlrev_b32_e32 v12, 2, v2
	v_sub_u32_e32 v12, v11, v12
	ds_read_b32 v15, v12 offset:2048
	v_lshlrev_b32_e32 v14, 2, v2
	s_waitcnt lgkmcnt(0)
	v_lshrrev_b32_e32 v12, s8, v15
	v_and_b32_e32 v12, s33, v12
	v_lshlrev_b32_e32 v12, 3, v12
	ds_read_b64 v[12:13], v12
	v_xor_b32_e32 v16, 0x7fffffff, v15
	v_mov_b32_e32 v15, v3
	s_waitcnt lgkmcnt(0)
	v_lshl_add_u64 v[12:13], v[12:13], 2, s[94:95]
	v_lshl_add_u64 v[12:13], v[12:13], 0, v[14:15]
	global_store_dword v[12:13], v16, off
.LBB15_107:
	s_or_b64 exec, exec, s[48:49]
	v_add_u32_e32 v12, 0x100, v2
	v_cmp_gt_u32_e64 s[48:49], s7, v12
	s_and_saveexec_b64 s[50:51], s[48:49]
	s_cbranch_execz .LBB15_109
; %bb.108:
	v_lshlrev_b32_e32 v12, 2, v2
	v_sub_u32_e32 v12, v11, v12
	ds_read_b32 v15, v12 offset:3072
	v_lshlrev_b32_e32 v14, 2, v2
	s_waitcnt lgkmcnt(0)
	v_lshrrev_b32_e32 v12, s8, v15
	v_and_b32_e32 v12, s33, v12
	v_lshlrev_b32_e32 v12, 3, v12
	ds_read_b64 v[12:13], v12
	v_xor_b32_e32 v16, 0x7fffffff, v15
	v_mov_b32_e32 v15, 0
	s_waitcnt lgkmcnt(0)
	v_lshl_add_u64 v[12:13], v[12:13], 2, s[94:95]
	v_lshl_add_u64 v[12:13], v[12:13], 0, v[14:15]
	global_store_dword v[12:13], v16, off offset:1024
.LBB15_109:
	s_or_b64 exec, exec, s[50:51]
	v_add_u32_e32 v12, 0x200, v2
	v_cmp_gt_u32_e64 s[50:51], s7, v12
	s_and_saveexec_b64 s[52:53], s[50:51]
	s_cbranch_execz .LBB15_111
; %bb.110:
	v_lshlrev_b32_e32 v12, 2, v2
	v_sub_u32_e32 v12, v11, v12
	ds_read_b32 v15, v12 offset:4096
	v_lshlrev_b32_e32 v14, 2, v2
	s_waitcnt lgkmcnt(0)
	v_lshrrev_b32_e32 v12, s8, v15
	v_and_b32_e32 v12, s33, v12
	v_lshlrev_b32_e32 v12, 3, v12
	ds_read_b64 v[12:13], v12
	v_xor_b32_e32 v16, 0x7fffffff, v15
	v_mov_b32_e32 v15, 0
	s_waitcnt lgkmcnt(0)
	v_lshl_add_u64 v[12:13], v[12:13], 2, s[94:95]
	v_lshl_add_u64 v[12:13], v[12:13], 0, v[14:15]
	global_store_dword v[12:13], v16, off offset:2048
.LBB15_111:
	;; [unrolled: 22-line block ×3, first 2 shown]
	s_or_b64 exec, exec, s[54:55]
	v_or_b32_e32 v12, 0x400, v2
	v_cmp_gt_u32_e64 s[54:55], s7, v12
	s_and_saveexec_b64 s[56:57], s[54:55]
	s_cbranch_execz .LBB15_115
; %bb.114:
	v_lshlrev_b32_e32 v13, 2, v2
	v_sub_u32_e32 v13, v11, v13
	ds_read_b32 v13, v13 offset:6144
	v_lshlrev_b32_e32 v12, 2, v12
	s_waitcnt lgkmcnt(0)
	v_lshrrev_b32_e32 v14, s8, v13
	v_and_b32_e32 v14, s33, v14
	v_lshlrev_b32_e32 v14, 3, v14
	ds_read_b64 v[14:15], v14
	v_xor_b32_e32 v16, 0x7fffffff, v13
	v_mov_b32_e32 v13, 0
	s_waitcnt lgkmcnt(0)
	v_lshl_add_u64 v[14:15], v[14:15], 2, s[94:95]
	v_lshl_add_u64 v[12:13], v[14:15], 0, v[12:13]
	global_store_dword v[12:13], v16, off
.LBB15_115:
	s_or_b64 exec, exec, s[56:57]
	v_add_u32_e32 v12, 0x500, v2
	v_cmp_gt_u32_e64 s[56:57], s7, v12
	s_and_saveexec_b64 s[58:59], s[56:57]
	s_cbranch_execz .LBB15_117
; %bb.116:
	v_lshlrev_b32_e32 v13, 2, v2
	v_sub_u32_e32 v13, v11, v13
	ds_read_b32 v13, v13 offset:7168
	v_lshlrev_b32_e32 v12, 2, v12
	s_waitcnt lgkmcnt(0)
	v_lshrrev_b32_e32 v14, s8, v13
	v_and_b32_e32 v14, s33, v14
	v_lshlrev_b32_e32 v14, 3, v14
	ds_read_b64 v[14:15], v14
	v_xor_b32_e32 v16, 0x7fffffff, v13
	v_mov_b32_e32 v13, 0
	s_waitcnt lgkmcnt(0)
	v_lshl_add_u64 v[14:15], v[14:15], 2, s[94:95]
	v_lshl_add_u64 v[12:13], v[14:15], 0, v[12:13]
	global_store_dword v[12:13], v16, off
.LBB15_117:
	s_or_b64 exec, exec, s[58:59]
	v_add_u32_e32 v12, 0x600, v2
	;; [unrolled: 22-line block ×3, first 2 shown]
	v_cmp_gt_u32_e64 s[60:61], s7, v12
	s_and_saveexec_b64 s[62:63], s[60:61]
	s_cbranch_execz .LBB15_121
; %bb.120:
	v_lshlrev_b32_e32 v13, 2, v2
	ds_read_b32 v13, v13 offset:9216
	v_lshlrev_b32_e32 v12, 2, v12
	s_waitcnt lgkmcnt(0)
	v_lshrrev_b32_e32 v14, s8, v13
	v_and_b32_e32 v14, s33, v14
	v_lshlrev_b32_e32 v14, 3, v14
	ds_read_b64 v[14:15], v14
	v_xor_b32_e32 v16, 0x7fffffff, v13
	v_mov_b32_e32 v13, 0
	s_waitcnt lgkmcnt(0)
	v_lshl_add_u64 v[14:15], v[14:15], 2, s[94:95]
	v_lshl_add_u64 v[12:13], v[14:15], 0, v[12:13]
	global_store_dword v[12:13], v16, off
.LBB15_121:
	s_or_b64 exec, exec, s[62:63]
	v_or_b32_e32 v12, 0x800, v2
	v_cmp_gt_u32_e64 s[62:63], s7, v12
	s_and_saveexec_b64 s[64:65], s[62:63]
	s_cbranch_execz .LBB15_123
; %bb.122:
	v_lshlrev_b32_e32 v13, 2, v2
	ds_read_b32 v13, v13 offset:10240
	v_lshlrev_b32_e32 v12, 2, v12
	s_waitcnt lgkmcnt(0)
	v_lshrrev_b32_e32 v14, s8, v13
	v_and_b32_e32 v14, s33, v14
	v_lshlrev_b32_e32 v14, 3, v14
	ds_read_b64 v[14:15], v14
	v_xor_b32_e32 v16, 0x7fffffff, v13
	v_mov_b32_e32 v13, 0
	s_waitcnt lgkmcnt(0)
	v_lshl_add_u64 v[14:15], v[14:15], 2, s[94:95]
	v_lshl_add_u64 v[12:13], v[14:15], 0, v[12:13]
	global_store_dword v[12:13], v16, off
.LBB15_123:
	s_or_b64 exec, exec, s[64:65]
	v_add_u32_e32 v12, 0x900, v2
	v_cmp_gt_u32_e64 s[64:65], s7, v12
	s_and_saveexec_b64 s[66:67], s[64:65]
	s_cbranch_execz .LBB15_125
; %bb.124:
	v_lshlrev_b32_e32 v13, 2, v2
	ds_read_b32 v13, v13 offset:11264
	v_lshlrev_b32_e32 v12, 2, v12
	s_waitcnt lgkmcnt(0)
	v_lshrrev_b32_e32 v14, s8, v13
	v_and_b32_e32 v14, s33, v14
	v_lshlrev_b32_e32 v14, 3, v14
	ds_read_b64 v[14:15], v14
	v_xor_b32_e32 v16, 0x7fffffff, v13
	v_mov_b32_e32 v13, 0
	s_waitcnt lgkmcnt(0)
	v_lshl_add_u64 v[14:15], v[14:15], 2, s[94:95]
	v_lshl_add_u64 v[12:13], v[14:15], 0, v[12:13]
	global_store_dword v[12:13], v16, off
.LBB15_125:
	s_or_b64 exec, exec, s[66:67]
	v_add_u32_e32 v12, 0xa00, v2
	v_cmp_gt_u32_e64 s[66:67], s7, v12
	s_and_saveexec_b64 s[68:69], s[66:67]
	s_cbranch_execz .LBB15_127
; %bb.126:
	v_lshlrev_b32_e32 v13, 2, v2
	ds_read_b32 v13, v13 offset:12288
	v_lshlrev_b32_e32 v12, 2, v12
	s_waitcnt lgkmcnt(0)
	v_lshrrev_b32_e32 v14, s8, v13
	v_and_b32_e32 v14, s33, v14
	v_lshlrev_b32_e32 v14, 3, v14
	ds_read_b64 v[14:15], v14
	v_xor_b32_e32 v16, 0x7fffffff, v13
	v_mov_b32_e32 v13, 0
	s_waitcnt lgkmcnt(0)
	v_lshl_add_u64 v[14:15], v[14:15], 2, s[94:95]
	v_lshl_add_u64 v[12:13], v[14:15], 0, v[12:13]
	global_store_dword v[12:13], v16, off
.LBB15_127:
	s_or_b64 exec, exec, s[68:69]
	v_add_u32_e32 v12, 0xb00, v2
	v_cmp_gt_u32_e64 s[68:69], s7, v12
	s_and_saveexec_b64 s[70:71], s[68:69]
	s_cbranch_execz .LBB15_129
; %bb.128:
	v_lshlrev_b32_e32 v13, 2, v2
	ds_read_b32 v13, v13 offset:13312
	v_lshlrev_b32_e32 v12, 2, v12
	s_waitcnt lgkmcnt(0)
	v_lshrrev_b32_e32 v14, s8, v13
	v_and_b32_e32 v14, s33, v14
	v_lshlrev_b32_e32 v14, 3, v14
	ds_read_b64 v[14:15], v14
	v_xor_b32_e32 v16, 0x7fffffff, v13
	v_mov_b32_e32 v13, 0
	s_waitcnt lgkmcnt(0)
	v_lshl_add_u64 v[14:15], v[14:15], 2, s[94:95]
	v_lshl_add_u64 v[12:13], v[14:15], 0, v[12:13]
	global_store_dword v[12:13], v16, off
.LBB15_129:
	s_or_b64 exec, exec, s[70:71]
	v_or_b32_e32 v12, 0xc00, v2
	v_cmp_gt_u32_e64 s[70:71], s7, v12
	s_and_saveexec_b64 s[72:73], s[70:71]
	s_cbranch_execz .LBB15_131
; %bb.130:
	v_lshlrev_b32_e32 v13, 2, v2
	ds_read_b32 v13, v13 offset:14336
	v_lshlrev_b32_e32 v12, 2, v12
	s_waitcnt lgkmcnt(0)
	v_lshrrev_b32_e32 v14, s8, v13
	v_and_b32_e32 v14, s33, v14
	v_lshlrev_b32_e32 v14, 3, v14
	ds_read_b64 v[14:15], v14
	v_xor_b32_e32 v16, 0x7fffffff, v13
	v_mov_b32_e32 v13, 0
	s_waitcnt lgkmcnt(0)
	v_lshl_add_u64 v[14:15], v[14:15], 2, s[94:95]
	v_lshl_add_u64 v[12:13], v[14:15], 0, v[12:13]
	global_store_dword v[12:13], v16, off
.LBB15_131:
	s_or_b64 exec, exec, s[72:73]
	v_add_u32_e32 v12, 0xd00, v2
	v_cmp_gt_u32_e64 s[72:73], s7, v12
	s_and_saveexec_b64 s[74:75], s[72:73]
	s_cbranch_execz .LBB15_133
; %bb.132:
	v_lshlrev_b32_e32 v13, 2, v2
	ds_read_b32 v13, v13 offset:15360
	v_lshlrev_b32_e32 v12, 2, v12
	s_waitcnt lgkmcnt(0)
	v_lshrrev_b32_e32 v14, s8, v13
	v_and_b32_e32 v14, s33, v14
	v_lshlrev_b32_e32 v14, 3, v14
	ds_read_b64 v[14:15], v14
	v_xor_b32_e32 v16, 0x7fffffff, v13
	v_mov_b32_e32 v13, 0
	s_waitcnt lgkmcnt(0)
	v_lshl_add_u64 v[14:15], v[14:15], 2, s[94:95]
	v_lshl_add_u64 v[12:13], v[14:15], 0, v[12:13]
	global_store_dword v[12:13], v16, off
.LBB15_133:
	s_or_b64 exec, exec, s[74:75]
	v_add_u32_e32 v12, 0xe00, v2
	;; [unrolled: 21-line block ×3, first 2 shown]
	v_cmp_gt_u32_e64 s[76:77], s7, v12
	s_and_saveexec_b64 s[78:79], s[76:77]
	s_cbranch_execz .LBB15_137
; %bb.136:
	v_lshlrev_b32_e32 v13, 2, v2
	ds_read_b32 v13, v13 offset:17408
	v_lshlrev_b32_e32 v12, 2, v12
	s_waitcnt lgkmcnt(0)
	v_lshrrev_b32_e32 v14, s8, v13
	v_and_b32_e32 v14, s33, v14
	v_lshlrev_b32_e32 v14, 3, v14
	ds_read_b64 v[14:15], v14
	v_xor_b32_e32 v16, 0x7fffffff, v13
	v_mov_b32_e32 v13, 0
	s_waitcnt lgkmcnt(0)
	v_lshl_add_u64 v[14:15], v[14:15], 2, s[94:95]
	v_lshl_add_u64 v[12:13], v[14:15], 0, v[12:13]
	global_store_dword v[12:13], v16, off
.LBB15_137:
	s_or_b64 exec, exec, s[78:79]
	v_or_b32_e32 v12, 0x1000, v2
	v_cmp_gt_u32_e64 s[78:79], s7, v12
	s_and_saveexec_b64 s[80:81], s[78:79]
	s_cbranch_execz .LBB15_139
; %bb.138:
	v_lshlrev_b32_e32 v13, 2, v2
	ds_read_b32 v13, v13 offset:18432
	v_lshlrev_b32_e32 v16, 2, v12
	v_mov_b32_e32 v17, 0
	s_waitcnt lgkmcnt(0)
	v_lshrrev_b32_e32 v14, s8, v13
	v_and_b32_e32 v14, s33, v14
	v_lshlrev_b32_e32 v14, 3, v14
	ds_read_b64 v[14:15], v14
	v_xor_b32_e32 v13, 0x7fffffff, v13
	s_waitcnt lgkmcnt(0)
	v_lshl_add_u64 v[14:15], v[14:15], 2, s[94:95]
	v_lshl_add_u64 v[14:15], v[14:15], 0, v[16:17]
	global_store_dword v[14:15], v13, off
.LBB15_139:
	s_or_b64 exec, exec, s[80:81]
	v_add_u32_e32 v14, 0x1100, v2
	v_cmp_gt_u32_e64 s[80:81], s7, v14
	s_and_saveexec_b64 s[82:83], s[80:81]
	s_cbranch_execz .LBB15_141
; %bb.140:
	v_lshlrev_b32_e32 v13, 2, v2
	ds_read_b32 v13, v13 offset:19456
	v_lshlrev_b32_e32 v18, 2, v14
	v_mov_b32_e32 v19, 0
	s_waitcnt lgkmcnt(0)
	v_lshrrev_b32_e32 v15, s8, v13
	v_and_b32_e32 v15, s33, v15
	v_lshlrev_b32_e32 v15, 3, v15
	ds_read_b64 v[16:17], v15
	v_xor_b32_e32 v13, 0x7fffffff, v13
	s_waitcnt lgkmcnt(0)
	v_lshl_add_u64 v[16:17], v[16:17], 2, s[94:95]
	v_lshl_add_u64 v[16:17], v[16:17], 0, v[18:19]
	global_store_dword v[16:17], v13, off
.LBB15_141:
	s_or_b64 exec, exec, s[82:83]
	v_add_u32_e32 v16, 0x1200, v2
	;; [unrolled: 21-line block ×3, first 2 shown]
	v_cmp_gt_u32_e64 s[84:85], s7, v18
	s_and_saveexec_b64 s[86:87], s[84:85]
	s_cbranch_execz .LBB15_145
; %bb.144:
	v_lshlrev_b32_e32 v13, 2, v2
	ds_read_b32 v13, v13 offset:21504
	v_lshlrev_b32_e32 v22, 2, v18
	v_mov_b32_e32 v23, 0
	s_waitcnt lgkmcnt(0)
	v_lshrrev_b32_e32 v15, s8, v13
	v_and_b32_e32 v15, s33, v15
	v_lshlrev_b32_e32 v15, 3, v15
	ds_read_b64 v[20:21], v15
	v_xor_b32_e32 v13, 0x7fffffff, v13
	s_waitcnt lgkmcnt(0)
	v_lshl_add_u64 v[20:21], v[20:21], 2, s[94:95]
	v_lshl_add_u64 v[20:21], v[20:21], 0, v[22:23]
	global_store_dword v[20:21], v13, off
.LBB15_145:
	s_or_b64 exec, exec, s[86:87]
	v_or_b32_e32 v20, 0x1400, v2
	v_cmp_gt_u32_e64 s[86:87], s7, v20
	s_and_saveexec_b64 s[88:89], s[86:87]
	s_cbranch_execz .LBB15_147
; %bb.146:
	v_lshlrev_b32_e32 v13, 2, v2
	ds_read_b32 v13, v13 offset:22528
	v_lshlrev_b32_e32 v24, 2, v20
	v_mov_b32_e32 v25, 0
	s_waitcnt lgkmcnt(0)
	v_lshrrev_b32_e32 v15, s8, v13
	v_and_b32_e32 v15, s33, v15
	v_lshlrev_b32_e32 v15, 3, v15
	ds_read_b64 v[22:23], v15
	v_xor_b32_e32 v13, 0x7fffffff, v13
	s_waitcnt lgkmcnt(0)
	v_lshl_add_u64 v[22:23], v[22:23], 2, s[94:95]
	v_lshl_add_u64 v[22:23], v[22:23], 0, v[24:25]
	global_store_dword v[22:23], v13, off
.LBB15_147:
	s_or_b64 exec, exec, s[88:89]
	v_add_u32_e32 v22, 0x1500, v2
	v_cmp_gt_u32_e64 s[88:89], s7, v22
	s_and_saveexec_b64 s[10:11], s[88:89]
	s_cbranch_execz .LBB15_149
; %bb.148:
	v_lshlrev_b32_e32 v13, 2, v2
	ds_read_b32 v13, v13 offset:23552
	v_lshlrev_b32_e32 v26, 2, v22
	v_mov_b32_e32 v27, 0
	s_waitcnt lgkmcnt(0)
	v_lshrrev_b32_e32 v15, s8, v13
	v_and_b32_e32 v15, s33, v15
	v_lshlrev_b32_e32 v15, 3, v15
	ds_read_b64 v[24:25], v15
	v_xor_b32_e32 v13, 0x7fffffff, v13
	s_waitcnt lgkmcnt(0)
	v_lshl_add_u64 v[24:25], v[24:25], 2, s[94:95]
	v_lshl_add_u64 v[24:25], v[24:25], 0, v[26:27]
	global_store_dword v[24:25], v13, off
.LBB15_149:
	s_or_b64 exec, exec, s[10:11]
	s_add_u32 s4, s96, s6
	s_addc_u32 s5, s97, 0
	v_lshl_add_u64 v[4:5], s[4:5], 0, v[4:5]
	v_readlane_b32 s10, v104, 4
	v_lshl_add_u64 v[4:5], v[4:5], 0, v[6:7]
	v_readlane_b32 s11, v104, 5
                                        ; implicit-def: $vgpr58
	s_and_saveexec_b64 s[4:5], s[10:11]
	s_xor_b64 s[10:11], exec, s[4:5]
	s_cbranch_execz .LBB15_151
; %bb.150:
	global_load_ubyte v58, v[4:5], off
.LBB15_151:
	s_or_b64 exec, exec, s[10:11]
                                        ; implicit-def: $vgpr59
	s_mov_b64 s[10:11], exec
	v_readlane_b32 s4, v104, 6
	v_readlane_b32 s5, v104, 7
	s_and_b64 s[4:5], s[10:11], s[4:5]
	s_mov_b64 exec, s[4:5]
	s_cbranch_execz .LBB15_153
; %bb.152:
	global_load_ubyte v59, v[4:5], off offset:64
.LBB15_153:
	s_or_b64 exec, exec, s[10:11]
                                        ; implicit-def: $vgpr60
	s_mov_b64 s[10:11], exec
	v_readlane_b32 s4, v104, 8
	v_readlane_b32 s5, v104, 9
	s_and_b64 s[4:5], s[10:11], s[4:5]
	s_mov_b64 exec, s[4:5]
	s_cbranch_execz .LBB15_155
; %bb.154:
	global_load_ubyte v60, v[4:5], off offset:128
.LBB15_155:
	s_or_b64 exec, exec, s[10:11]
                                        ; implicit-def: $vgpr61
	s_mov_b64 s[10:11], exec
	v_readlane_b32 s4, v104, 10
	v_readlane_b32 s5, v104, 11
	s_and_b64 s[4:5], s[10:11], s[4:5]
	s_mov_b64 exec, s[4:5]
	s_cbranch_execz .LBB15_157
; %bb.156:
	global_load_ubyte v61, v[4:5], off offset:192
.LBB15_157:
	s_or_b64 exec, exec, s[10:11]
                                        ; implicit-def: $vgpr62
	s_mov_b64 s[10:11], exec
	v_readlane_b32 s4, v104, 12
	v_readlane_b32 s5, v104, 13
	s_and_b64 s[4:5], s[10:11], s[4:5]
	s_mov_b64 exec, s[4:5]
	s_cbranch_execz .LBB15_159
; %bb.158:
	global_load_ubyte v62, v[4:5], off offset:256
.LBB15_159:
	s_or_b64 exec, exec, s[10:11]
                                        ; implicit-def: $vgpr63
	s_mov_b64 s[4:5], exec
	v_readlane_b32 s10, v104, 14
	v_readlane_b32 s11, v104, 15
	s_and_b64 s[10:11], s[4:5], s[10:11]
	s_mov_b64 exec, s[10:11]
	s_cbranch_execz .LBB15_243
; %bb.160:
	global_load_ubyte v63, v[4:5], off offset:320
	s_or_b64 exec, exec, s[4:5]
                                        ; implicit-def: $vgpr64
	s_and_saveexec_b64 s[4:5], s[14:15]
	s_cbranch_execnz .LBB15_244
.LBB15_161:
	s_or_b64 exec, exec, s[4:5]
                                        ; implicit-def: $vgpr65
	s_and_saveexec_b64 s[4:5], s[16:17]
	s_cbranch_execz .LBB15_245
.LBB15_162:
	global_load_ubyte v65, v[4:5], off offset:448
	s_or_b64 exec, exec, s[4:5]
                                        ; implicit-def: $vgpr66
	s_and_saveexec_b64 s[4:5], s[18:19]
	s_cbranch_execnz .LBB15_246
.LBB15_163:
	s_or_b64 exec, exec, s[4:5]
                                        ; implicit-def: $vgpr67
	s_and_saveexec_b64 s[4:5], s[20:21]
	s_cbranch_execz .LBB15_247
.LBB15_164:
	global_load_ubyte v67, v[4:5], off offset:576
	s_or_b64 exec, exec, s[4:5]
                                        ; implicit-def: $vgpr68
	s_and_saveexec_b64 s[4:5], s[22:23]
	s_cbranch_execnz .LBB15_248
.LBB15_165:
	s_or_b64 exec, exec, s[4:5]
                                        ; implicit-def: $vgpr69
	s_and_saveexec_b64 s[4:5], s[24:25]
	s_cbranch_execz .LBB15_249
.LBB15_166:
	global_load_ubyte v69, v[4:5], off offset:704
	s_or_b64 exec, exec, s[4:5]
                                        ; implicit-def: $vgpr70
	s_and_saveexec_b64 s[4:5], s[26:27]
	s_cbranch_execnz .LBB15_250
.LBB15_167:
	s_or_b64 exec, exec, s[4:5]
                                        ; implicit-def: $vgpr71
	s_and_saveexec_b64 s[4:5], s[28:29]
	s_cbranch_execz .LBB15_251
.LBB15_168:
	global_load_ubyte v71, v[4:5], off offset:832
	s_or_b64 exec, exec, s[4:5]
                                        ; implicit-def: $vgpr72
	s_and_saveexec_b64 s[4:5], s[30:31]
	s_cbranch_execnz .LBB15_252
.LBB15_169:
	s_or_b64 exec, exec, s[4:5]
                                        ; implicit-def: $vgpr73
	s_and_saveexec_b64 s[4:5], s[34:35]
	s_cbranch_execz .LBB15_253
.LBB15_170:
	global_load_ubyte v73, v[4:5], off offset:960
	s_or_b64 exec, exec, s[4:5]
                                        ; implicit-def: $vgpr74
	s_and_saveexec_b64 s[4:5], s[36:37]
	s_cbranch_execnz .LBB15_254
.LBB15_171:
	s_or_b64 exec, exec, s[4:5]
                                        ; implicit-def: $vgpr75
	s_and_saveexec_b64 s[4:5], s[38:39]
	s_cbranch_execz .LBB15_255
.LBB15_172:
	global_load_ubyte v75, v[4:5], off offset:1088
	s_or_b64 exec, exec, s[4:5]
                                        ; implicit-def: $vgpr76
	s_and_saveexec_b64 s[4:5], s[40:41]
	s_cbranch_execnz .LBB15_256
.LBB15_173:
	s_or_b64 exec, exec, s[4:5]
                                        ; implicit-def: $vgpr77
	s_and_saveexec_b64 s[4:5], s[42:43]
	s_cbranch_execz .LBB15_257
.LBB15_174:
	global_load_ubyte v77, v[4:5], off offset:1216
	s_or_b64 exec, exec, s[4:5]
                                        ; implicit-def: $vgpr78
	s_and_saveexec_b64 s[4:5], s[44:45]
	s_cbranch_execnz .LBB15_258
.LBB15_175:
	s_or_b64 exec, exec, s[4:5]
                                        ; implicit-def: $vgpr79
	s_and_saveexec_b64 s[4:5], s[46:47]
	s_cbranch_execz .LBB15_177
.LBB15_176:
	global_load_ubyte v79, v[4:5], off offset:1344
.LBB15_177:
	s_or_b64 exec, exec, s[4:5]
	v_mov_b32_e32 v6, 0
	v_mov_b32_e32 v27, 0
	s_and_saveexec_b64 s[4:5], vcc
	s_cbranch_execz .LBB15_179
; %bb.178:
	v_lshlrev_b32_e32 v4, 2, v2
	ds_read_b32 v4, v4 offset:2048
	s_waitcnt lgkmcnt(0)
	v_lshrrev_b32_e32 v4, s8, v4
	v_and_b32_e32 v27, s33, v4
.LBB15_179:
	s_or_b64 exec, exec, s[4:5]
	s_and_saveexec_b64 s[4:5], s[48:49]
	s_cbranch_execz .LBB15_181
; %bb.180:
	v_lshlrev_b32_e32 v4, 2, v2
	ds_read_b32 v4, v4 offset:3072
	s_waitcnt lgkmcnt(0)
	v_lshrrev_b32_e32 v4, s8, v4
	v_and_b32_e32 v6, s33, v4
.LBB15_181:
	s_or_b64 exec, exec, s[4:5]
	v_mov_b32_e32 v7, 0
	v_mov_b32_e32 v28, 0
	s_and_saveexec_b64 s[4:5], s[50:51]
	s_cbranch_execz .LBB15_183
; %bb.182:
	v_lshlrev_b32_e32 v4, 2, v2
	ds_read_b32 v4, v4 offset:4096
	s_waitcnt lgkmcnt(0)
	v_lshrrev_b32_e32 v4, s8, v4
	v_and_b32_e32 v28, s33, v4
.LBB15_183:
	s_or_b64 exec, exec, s[4:5]
	s_and_saveexec_b64 s[4:5], s[52:53]
	s_cbranch_execz .LBB15_185
; %bb.184:
	v_lshlrev_b32_e32 v4, 2, v2
	ds_read_b32 v4, v4 offset:5120
	s_waitcnt lgkmcnt(0)
	v_lshrrev_b32_e32 v4, s8, v4
	v_and_b32_e32 v7, s33, v4
.LBB15_185:
	s_or_b64 exec, exec, s[4:5]
	v_mov_b32_e32 v13, 0
	v_mov_b32_e32 v29, 0
	s_and_saveexec_b64 s[4:5], s[54:55]
	;; [unrolled: 22-line block ×10, first 2 shown]
	s_cbranch_execz .LBB15_219
; %bb.218:
	v_lshlrev_b32_e32 v25, 2, v2
	ds_read_b32 v25, v25 offset:22528
	s_waitcnt lgkmcnt(0)
	v_lshrrev_b32_e32 v25, s8, v25
	v_and_b32_e32 v25, s33, v25
.LBB15_219:
	s_or_b64 exec, exec, s[4:5]
	s_and_saveexec_b64 s[4:5], s[88:89]
	s_cbranch_execz .LBB15_221
; %bb.220:
	v_lshlrev_b32_e32 v4, 2, v2
	ds_read_b32 v4, v4 offset:23552
	s_waitcnt lgkmcnt(0)
	v_lshrrev_b32_e32 v4, s8, v4
	v_and_b32_e32 v4, s33, v4
.LBB15_221:
	s_or_b64 exec, exec, s[4:5]
	s_barrier
	s_waitcnt vmcnt(0)
	ds_write_b8 v33, v58 offset:2048
	ds_write_b8 v34, v59 offset:2048
	;; [unrolled: 1-line block ×22, first 2 shown]
	s_waitcnt lgkmcnt(0)
	s_barrier
	s_and_saveexec_b64 s[4:5], vcc
	s_cbranch_execz .LBB15_259
; %bb.222:
	v_lshlrev_b32_e32 v27, 3, v27
	ds_read_b64 v[34:35], v27
	ds_read_u8 v27, v2 offset:2048
	s_waitcnt lgkmcnt(1)
	v_lshl_add_u64 v[34:35], s[98:99], 0, v[34:35]
	v_lshl_add_u64 v[34:35], v[34:35], 0, v[2:3]
	s_waitcnt lgkmcnt(0)
	global_store_byte v[34:35], v27, off
	s_or_b64 exec, exec, s[4:5]
	s_and_saveexec_b64 s[4:5], s[48:49]
	s_cbranch_execnz .LBB15_260
.LBB15_223:
	s_or_b64 exec, exec, s[4:5]
	s_and_saveexec_b64 s[4:5], s[50:51]
	s_cbranch_execz .LBB15_261
.LBB15_224:
	v_lshlrev_b32_e32 v6, 3, v28
	ds_read_b64 v[34:35], v6
	ds_read_u8 v6, v2 offset:2560
	s_waitcnt lgkmcnt(1)
	v_lshl_add_u64 v[34:35], s[98:99], 0, v[34:35]
	v_lshl_add_u64 v[34:35], v[34:35], 0, v[2:3]
	s_waitcnt lgkmcnt(0)
	global_store_byte v[34:35], v6, off offset:512
	s_or_b64 exec, exec, s[4:5]
	s_and_saveexec_b64 s[4:5], s[52:53]
	s_cbranch_execnz .LBB15_262
.LBB15_225:
	s_or_b64 exec, exec, s[4:5]
	s_and_saveexec_b64 s[4:5], s[54:55]
	s_cbranch_execz .LBB15_263
.LBB15_226:
	v_lshlrev_b32_e32 v6, 3, v29
	ds_read_b64 v[6:7], v6
	ds_read_u8 v27, v2 offset:3072
	s_waitcnt lgkmcnt(1)
	v_lshl_add_u64 v[6:7], s[98:99], 0, v[6:7]
	v_lshl_add_u64 v[6:7], v[6:7], 0, v[2:3]
	s_waitcnt lgkmcnt(0)
	global_store_byte v[6:7], v27, off offset:1024
	s_or_b64 exec, exec, s[4:5]
	s_and_saveexec_b64 s[4:5], s[56:57]
	s_cbranch_execnz .LBB15_264
.LBB15_227:
	s_or_b64 exec, exec, s[4:5]
	s_and_saveexec_b64 s[4:5], s[58:59]
	s_cbranch_execz .LBB15_265
.LBB15_228:
	v_lshlrev_b32_e32 v6, 3, v30
	ds_read_b64 v[6:7], v6
	ds_read_u8 v13, v2 offset:3584
	s_waitcnt lgkmcnt(1)
	v_lshl_add_u64 v[6:7], s[98:99], 0, v[6:7]
	v_lshl_add_u64 v[6:7], v[6:7], 0, v[2:3]
	s_waitcnt lgkmcnt(0)
	global_store_byte v[6:7], v13, off offset:1536
	s_or_b64 exec, exec, s[4:5]
	s_and_saveexec_b64 s[4:5], s[60:61]
	s_cbranch_execnz .LBB15_266
.LBB15_229:
	s_or_b64 exec, exec, s[4:5]
	s_and_saveexec_b64 s[4:5], s[62:63]
	s_cbranch_execz .LBB15_267
.LBB15_230:
	v_lshlrev_b32_e32 v6, 3, v31
	ds_read_b64 v[6:7], v6
	ds_read_u8 v13, v2 offset:4096
	s_waitcnt lgkmcnt(1)
	v_lshl_add_u64 v[6:7], s[98:99], 0, v[6:7]
	v_lshl_add_u64 v[6:7], v[6:7], 0, v[2:3]
	s_waitcnt lgkmcnt(0)
	global_store_byte v[6:7], v13, off offset:2048
	s_or_b64 exec, exec, s[4:5]
	s_and_saveexec_b64 s[4:5], s[64:65]
	s_cbranch_execnz .LBB15_268
.LBB15_231:
	s_or_b64 exec, exec, s[4:5]
	s_and_saveexec_b64 s[4:5], s[66:67]
	s_cbranch_execz .LBB15_269
.LBB15_232:
	v_lshlrev_b32_e32 v6, 3, v32
	ds_read_b64 v[6:7], v6
	ds_read_u8 v13, v2 offset:4608
	s_waitcnt lgkmcnt(1)
	v_lshl_add_u64 v[6:7], s[98:99], 0, v[6:7]
	v_lshl_add_u64 v[6:7], v[6:7], 0, v[2:3]
	s_waitcnt lgkmcnt(0)
	global_store_byte v[6:7], v13, off offset:2560
	s_or_b64 exec, exec, s[4:5]
	s_and_saveexec_b64 s[4:5], s[68:69]
	s_cbranch_execnz .LBB15_270
.LBB15_233:
	s_or_b64 exec, exec, s[4:5]
	s_and_saveexec_b64 s[4:5], s[70:71]
	s_cbranch_execz .LBB15_271
.LBB15_234:
	v_lshlrev_b32_e32 v6, 3, v56
	ds_read_b64 v[6:7], v6
	ds_read_u8 v13, v2 offset:5120
	s_waitcnt lgkmcnt(1)
	v_lshl_add_u64 v[6:7], s[98:99], 0, v[6:7]
	v_lshl_add_u64 v[6:7], v[6:7], 0, v[2:3]
	s_waitcnt lgkmcnt(0)
	global_store_byte v[6:7], v13, off offset:3072
	s_or_b64 exec, exec, s[4:5]
	s_and_saveexec_b64 s[4:5], s[72:73]
	s_cbranch_execnz .LBB15_272
.LBB15_235:
	s_or_b64 exec, exec, s[4:5]
	s_and_saveexec_b64 s[4:5], s[74:75]
	s_cbranch_execz .LBB15_273
.LBB15_236:
	v_lshlrev_b32_e32 v6, 3, v57
	ds_read_b64 v[6:7], v6
	ds_read_u8 v13, v2 offset:5632
	s_waitcnt lgkmcnt(1)
	v_lshl_add_u64 v[6:7], s[98:99], 0, v[6:7]
	v_lshl_add_u64 v[6:7], v[6:7], 0, v[2:3]
	s_waitcnt lgkmcnt(0)
	global_store_byte v[6:7], v13, off offset:3584
	s_or_b64 exec, exec, s[4:5]
	s_and_saveexec_b64 s[4:5], s[76:77]
	s_cbranch_execnz .LBB15_274
.LBB15_237:
	s_or_b64 exec, exec, s[4:5]
	s_and_saveexec_b64 s[4:5], s[78:79]
	s_cbranch_execz .LBB15_275
.LBB15_238:
	v_lshlrev_b32_e32 v3, 3, v55
	ds_read_b64 v[6:7], v3
	ds_read_u8 v3, v2 offset:6144
	v_mov_b32_e32 v13, 0
	s_waitcnt lgkmcnt(1)
	v_lshl_add_u64 v[6:7], s[98:99], 0, v[6:7]
	v_lshl_add_u64 v[6:7], v[6:7], 0, v[12:13]
	s_waitcnt lgkmcnt(0)
	global_store_byte v[6:7], v3, off
	s_or_b64 exec, exec, s[4:5]
	s_and_saveexec_b64 s[4:5], s[80:81]
	s_cbranch_execnz .LBB15_276
.LBB15_239:
	s_or_b64 exec, exec, s[4:5]
	s_and_saveexec_b64 s[4:5], s[82:83]
	s_cbranch_execz .LBB15_277
.LBB15_240:
	v_lshlrev_b32_e32 v3, 3, v26
	ds_read_b64 v[6:7], v3
	ds_read_u8 v3, v2 offset:6656
	v_mov_b32_e32 v17, 0
	s_waitcnt lgkmcnt(1)
	v_lshl_add_u64 v[6:7], s[98:99], 0, v[6:7]
	v_lshl_add_u64 v[6:7], v[6:7], 0, v[16:17]
	s_waitcnt lgkmcnt(0)
	global_store_byte v[6:7], v3, off
	s_or_b64 exec, exec, s[4:5]
	s_and_saveexec_b64 s[4:5], s[84:85]
	s_cbranch_execnz .LBB15_278
.LBB15_241:
	s_or_b64 exec, exec, s[4:5]
	s_and_saveexec_b64 s[4:5], s[86:87]
	s_cbranch_execz .LBB15_279
.LBB15_242:
	v_lshlrev_b32_e32 v3, 3, v25
	ds_read_b64 v[6:7], v3
	ds_read_u8 v3, v2 offset:7168
	v_mov_b32_e32 v21, 0
	s_waitcnt lgkmcnt(1)
	v_lshl_add_u64 v[6:7], s[98:99], 0, v[6:7]
	v_lshl_add_u64 v[6:7], v[6:7], 0, v[20:21]
	s_waitcnt lgkmcnt(0)
	global_store_byte v[6:7], v3, off
	s_or_b64 exec, exec, s[4:5]
	s_and_saveexec_b64 s[4:5], s[88:89]
	s_cbranch_execnz .LBB15_280
	s_branch .LBB15_281
.LBB15_243:
	s_or_b64 exec, exec, s[4:5]
                                        ; implicit-def: $vgpr64
	s_and_saveexec_b64 s[4:5], s[14:15]
	s_cbranch_execz .LBB15_161
.LBB15_244:
	global_load_ubyte v64, v[4:5], off offset:384
	s_or_b64 exec, exec, s[4:5]
                                        ; implicit-def: $vgpr65
	s_and_saveexec_b64 s[4:5], s[16:17]
	s_cbranch_execnz .LBB15_162
.LBB15_245:
	s_or_b64 exec, exec, s[4:5]
                                        ; implicit-def: $vgpr66
	s_and_saveexec_b64 s[4:5], s[18:19]
	s_cbranch_execz .LBB15_163
.LBB15_246:
	global_load_ubyte v66, v[4:5], off offset:512
	s_or_b64 exec, exec, s[4:5]
                                        ; implicit-def: $vgpr67
	s_and_saveexec_b64 s[4:5], s[20:21]
	s_cbranch_execnz .LBB15_164
.LBB15_247:
	s_or_b64 exec, exec, s[4:5]
                                        ; implicit-def: $vgpr68
	s_and_saveexec_b64 s[4:5], s[22:23]
	s_cbranch_execz .LBB15_165
.LBB15_248:
	global_load_ubyte v68, v[4:5], off offset:640
	s_or_b64 exec, exec, s[4:5]
                                        ; implicit-def: $vgpr69
	s_and_saveexec_b64 s[4:5], s[24:25]
	s_cbranch_execnz .LBB15_166
.LBB15_249:
	s_or_b64 exec, exec, s[4:5]
                                        ; implicit-def: $vgpr70
	s_and_saveexec_b64 s[4:5], s[26:27]
	s_cbranch_execz .LBB15_167
.LBB15_250:
	global_load_ubyte v70, v[4:5], off offset:768
	s_or_b64 exec, exec, s[4:5]
                                        ; implicit-def: $vgpr71
	s_and_saveexec_b64 s[4:5], s[28:29]
	s_cbranch_execnz .LBB15_168
.LBB15_251:
	s_or_b64 exec, exec, s[4:5]
                                        ; implicit-def: $vgpr72
	s_and_saveexec_b64 s[4:5], s[30:31]
	s_cbranch_execz .LBB15_169
.LBB15_252:
	global_load_ubyte v72, v[4:5], off offset:896
	s_or_b64 exec, exec, s[4:5]
                                        ; implicit-def: $vgpr73
	s_and_saveexec_b64 s[4:5], s[34:35]
	s_cbranch_execnz .LBB15_170
.LBB15_253:
	s_or_b64 exec, exec, s[4:5]
                                        ; implicit-def: $vgpr74
	s_and_saveexec_b64 s[4:5], s[36:37]
	s_cbranch_execz .LBB15_171
.LBB15_254:
	global_load_ubyte v74, v[4:5], off offset:1024
	s_or_b64 exec, exec, s[4:5]
                                        ; implicit-def: $vgpr75
	s_and_saveexec_b64 s[4:5], s[38:39]
	s_cbranch_execnz .LBB15_172
.LBB15_255:
	s_or_b64 exec, exec, s[4:5]
                                        ; implicit-def: $vgpr76
	s_and_saveexec_b64 s[4:5], s[40:41]
	s_cbranch_execz .LBB15_173
.LBB15_256:
	global_load_ubyte v76, v[4:5], off offset:1152
	s_or_b64 exec, exec, s[4:5]
                                        ; implicit-def: $vgpr77
	s_and_saveexec_b64 s[4:5], s[42:43]
	s_cbranch_execnz .LBB15_174
.LBB15_257:
	s_or_b64 exec, exec, s[4:5]
                                        ; implicit-def: $vgpr78
	s_and_saveexec_b64 s[4:5], s[44:45]
	s_cbranch_execz .LBB15_175
.LBB15_258:
	global_load_ubyte v78, v[4:5], off offset:1280
	s_or_b64 exec, exec, s[4:5]
                                        ; implicit-def: $vgpr79
	s_and_saveexec_b64 s[4:5], s[46:47]
	s_cbranch_execnz .LBB15_176
	s_branch .LBB15_177
.LBB15_259:
	s_or_b64 exec, exec, s[4:5]
	s_and_saveexec_b64 s[4:5], s[48:49]
	s_cbranch_execz .LBB15_223
.LBB15_260:
	v_lshlrev_b32_e32 v6, 3, v6
	ds_read_b64 v[34:35], v6
	ds_read_u8 v6, v2 offset:2304
	s_waitcnt lgkmcnt(1)
	v_lshl_add_u64 v[34:35], s[98:99], 0, v[34:35]
	v_lshl_add_u64 v[34:35], v[34:35], 0, v[2:3]
	s_waitcnt lgkmcnt(0)
	global_store_byte v[34:35], v6, off offset:256
	s_or_b64 exec, exec, s[4:5]
	s_and_saveexec_b64 s[4:5], s[50:51]
	s_cbranch_execnz .LBB15_224
.LBB15_261:
	s_or_b64 exec, exec, s[4:5]
	s_and_saveexec_b64 s[4:5], s[52:53]
	s_cbranch_execz .LBB15_225
.LBB15_262:
	v_lshlrev_b32_e32 v6, 3, v7
	ds_read_b64 v[6:7], v6
	ds_read_u8 v27, v2 offset:2816
	s_waitcnt lgkmcnt(1)
	v_lshl_add_u64 v[6:7], s[98:99], 0, v[6:7]
	v_lshl_add_u64 v[6:7], v[6:7], 0, v[2:3]
	s_waitcnt lgkmcnt(0)
	global_store_byte v[6:7], v27, off offset:768
	s_or_b64 exec, exec, s[4:5]
	s_and_saveexec_b64 s[4:5], s[54:55]
	s_cbranch_execnz .LBB15_226
.LBB15_263:
	s_or_b64 exec, exec, s[4:5]
	s_and_saveexec_b64 s[4:5], s[56:57]
	s_cbranch_execz .LBB15_227
.LBB15_264:
	v_lshlrev_b32_e32 v6, 3, v13
	ds_read_b64 v[6:7], v6
	ds_read_u8 v13, v2 offset:3328
	s_waitcnt lgkmcnt(1)
	v_lshl_add_u64 v[6:7], s[98:99], 0, v[6:7]
	v_lshl_add_u64 v[6:7], v[6:7], 0, v[2:3]
	s_waitcnt lgkmcnt(0)
	global_store_byte v[6:7], v13, off offset:1280
	s_or_b64 exec, exec, s[4:5]
	s_and_saveexec_b64 s[4:5], s[58:59]
	s_cbranch_execnz .LBB15_228
.LBB15_265:
	s_or_b64 exec, exec, s[4:5]
	s_and_saveexec_b64 s[4:5], s[60:61]
	s_cbranch_execz .LBB15_229
.LBB15_266:
	v_lshlrev_b32_e32 v6, 3, v17
	ds_read_b64 v[6:7], v6
	ds_read_u8 v13, v2 offset:3840
	s_waitcnt lgkmcnt(1)
	v_lshl_add_u64 v[6:7], s[98:99], 0, v[6:7]
	v_lshl_add_u64 v[6:7], v[6:7], 0, v[2:3]
	s_waitcnt lgkmcnt(0)
	global_store_byte v[6:7], v13, off offset:1792
	s_or_b64 exec, exec, s[4:5]
	s_and_saveexec_b64 s[4:5], s[62:63]
	s_cbranch_execnz .LBB15_230
.LBB15_267:
	s_or_b64 exec, exec, s[4:5]
	s_and_saveexec_b64 s[4:5], s[64:65]
	s_cbranch_execz .LBB15_231
.LBB15_268:
	v_lshlrev_b32_e32 v6, 3, v19
	ds_read_b64 v[6:7], v6
	ds_read_u8 v13, v2 offset:4352
	s_waitcnt lgkmcnt(1)
	v_lshl_add_u64 v[6:7], s[98:99], 0, v[6:7]
	v_lshl_add_u64 v[6:7], v[6:7], 0, v[2:3]
	s_waitcnt lgkmcnt(0)
	global_store_byte v[6:7], v13, off offset:2304
	s_or_b64 exec, exec, s[4:5]
	s_and_saveexec_b64 s[4:5], s[66:67]
	s_cbranch_execnz .LBB15_232
.LBB15_269:
	s_or_b64 exec, exec, s[4:5]
	s_and_saveexec_b64 s[4:5], s[68:69]
	s_cbranch_execz .LBB15_233
.LBB15_270:
	v_lshlrev_b32_e32 v6, 3, v21
	ds_read_b64 v[6:7], v6
	ds_read_u8 v13, v2 offset:4864
	s_waitcnt lgkmcnt(1)
	v_lshl_add_u64 v[6:7], s[98:99], 0, v[6:7]
	v_lshl_add_u64 v[6:7], v[6:7], 0, v[2:3]
	s_waitcnt lgkmcnt(0)
	global_store_byte v[6:7], v13, off offset:2816
	s_or_b64 exec, exec, s[4:5]
	s_and_saveexec_b64 s[4:5], s[70:71]
	s_cbranch_execnz .LBB15_234
.LBB15_271:
	s_or_b64 exec, exec, s[4:5]
	s_and_saveexec_b64 s[4:5], s[72:73]
	s_cbranch_execz .LBB15_235
.LBB15_272:
	v_lshlrev_b32_e32 v6, 3, v23
	ds_read_b64 v[6:7], v6
	ds_read_u8 v13, v2 offset:5376
	s_waitcnt lgkmcnt(1)
	v_lshl_add_u64 v[6:7], s[98:99], 0, v[6:7]
	v_lshl_add_u64 v[6:7], v[6:7], 0, v[2:3]
	s_waitcnt lgkmcnt(0)
	global_store_byte v[6:7], v13, off offset:3328
	s_or_b64 exec, exec, s[4:5]
	s_and_saveexec_b64 s[4:5], s[74:75]
	s_cbranch_execnz .LBB15_236
.LBB15_273:
	s_or_b64 exec, exec, s[4:5]
	s_and_saveexec_b64 s[4:5], s[76:77]
	s_cbranch_execz .LBB15_237
.LBB15_274:
	v_lshlrev_b32_e32 v6, 3, v24
	ds_read_b64 v[6:7], v6
	ds_read_u8 v13, v2 offset:5888
	s_waitcnt lgkmcnt(1)
	v_lshl_add_u64 v[6:7], s[98:99], 0, v[6:7]
	v_lshl_add_u64 v[6:7], v[6:7], 0, v[2:3]
	s_waitcnt lgkmcnt(0)
	global_store_byte v[6:7], v13, off offset:3840
	s_or_b64 exec, exec, s[4:5]
	s_and_saveexec_b64 s[4:5], s[78:79]
	s_cbranch_execnz .LBB15_238
.LBB15_275:
	s_or_b64 exec, exec, s[4:5]
	s_and_saveexec_b64 s[4:5], s[80:81]
	s_cbranch_execz .LBB15_239
.LBB15_276:
	v_lshlrev_b32_e32 v3, 3, v15
	ds_read_b64 v[6:7], v3
	ds_read_u8 v3, v2 offset:6400
	v_mov_b32_e32 v15, 0
	s_waitcnt lgkmcnt(1)
	v_lshl_add_u64 v[6:7], s[98:99], 0, v[6:7]
	v_lshl_add_u64 v[6:7], v[6:7], 0, v[14:15]
	s_waitcnt lgkmcnt(0)
	global_store_byte v[6:7], v3, off
	s_or_b64 exec, exec, s[4:5]
	s_and_saveexec_b64 s[4:5], s[82:83]
	s_cbranch_execnz .LBB15_240
.LBB15_277:
	s_or_b64 exec, exec, s[4:5]
	s_and_saveexec_b64 s[4:5], s[84:85]
	s_cbranch_execz .LBB15_241
.LBB15_278:
	v_lshlrev_b32_e32 v3, 3, v5
	ds_read_b64 v[6:7], v3
	ds_read_u8 v3, v2 offset:6912
	v_mov_b32_e32 v19, 0
	s_waitcnt lgkmcnt(1)
	v_lshl_add_u64 v[6:7], s[98:99], 0, v[6:7]
	v_lshl_add_u64 v[6:7], v[6:7], 0, v[18:19]
	s_waitcnt lgkmcnt(0)
	global_store_byte v[6:7], v3, off
	s_or_b64 exec, exec, s[4:5]
	s_and_saveexec_b64 s[4:5], s[86:87]
	s_cbranch_execnz .LBB15_242
.LBB15_279:
	s_or_b64 exec, exec, s[4:5]
	s_and_saveexec_b64 s[4:5], s[88:89]
	s_cbranch_execz .LBB15_281
.LBB15_280:
	v_lshlrev_b32_e32 v3, 3, v4
	ds_read_b64 v[4:5], v3
	ds_read_u8 v3, v2 offset:7424
	v_mov_b32_e32 v23, 0
	s_waitcnt lgkmcnt(1)
	v_lshl_add_u64 v[4:5], s[98:99], 0, v[4:5]
	v_lshl_add_u64 v[4:5], v[4:5], 0, v[22:23]
	s_waitcnt lgkmcnt(0)
	global_store_byte v[4:5], v3, off
.LBB15_281:
	s_or_b64 exec, exec, s[4:5]
	s_load_dword s4, s[0:1], 0x50
	s_waitcnt lgkmcnt(0)
	s_add_i32 s4, s4, -1
	s_cmp_eq_u32 s2, s4
	s_cbranch_scc0 .LBB15_283
; %bb.282:
	ds_read_b64 v[4:5], v11
	s_load_dwordx4 s[12:15], s[0:1], 0x28
	v_mov_b32_e32 v11, 0
	v_lshl_add_u64 v[6:7], v[10:11], 0, v[8:9]
	v_lshlrev_b32_e32 v8, 3, v2
	s_waitcnt lgkmcnt(0)
	v_lshl_add_u64 v[2:3], v[6:7], 0, v[4:5]
	global_store_dwordx2 v8, v[2:3], s[14:15]
.LBB15_283:
	s_mov_b64 s[4:5], 0
.LBB15_284:
	s_and_b64 vcc, exec, s[4:5]
	s_cbranch_vccz .LBB15_347
; %bb.285:
	s_mov_b32 s7, 0
	s_lshl_b64 s[4:5], s[6:7], 2
	s_add_u32 s4, s92, s4
	v_mbcnt_hi_u32_b32 v4, -1, v1
	v_mov_b32_e32 v5, 0
	s_addc_u32 s5, s93, s5
	v_lshlrev_b32_e32 v2, 2, v4
	v_mov_b32_e32 v3, v5
	v_lshl_add_u64 v[2:3], s[4:5], 0, v[2:3]
	s_load_dword s7, s[0:1], 0x50
	s_load_dword s4, s[0:1], 0x5c
	v_and_b32_e32 v7, 0xc0, v0
	v_mul_u32_u24_e32 v6, 22, v7
	v_lshlrev_b32_e32 v8, 2, v6
	v_mov_b32_e32 v9, v5
	s_add_u32 s0, s0, 0x50
	v_lshl_add_u64 v[10:11], v[2:3], 0, v[8:9]
	s_addc_u32 s1, s1, 0
	s_waitcnt lgkmcnt(0)
	s_lshr_b32 s4, s4, 16
	global_load_dword v13, v[10:11], off
	s_cmp_lt_u32 s2, s7
	s_cselect_b32 s5, 12, 18
	s_add_u32 s0, s0, s5
	s_addc_u32 s1, s1, 0
	global_load_ushort v18, v5, s[0:1]
	v_and_b32_e32 v2, 0x3ff, v0
	v_mul_u32_u24_e32 v3, 20, v2
	ds_write2_b32 v3, v5, v5 offset0:4 offset1:5
	ds_write2_b32 v3, v5, v5 offset0:6 offset1:7
	ds_write_b32 v3, v5 offset:32
	global_load_dword v9, v[10:11], off offset:256
	global_load_dword v8, v[10:11], off offset:512
	;; [unrolled: 1-line block ×15, first 2 shown]
	s_movk_i32 s0, 0x1000
	v_add_co_u32_e32 v16, vcc, s0, v10
	v_bfe_u32 v15, v0, 10, 10
	s_nop 0
	v_addc_co_u32_e32 v17, vcc, 0, v11, vcc
	global_load_dword v45, v[16:17], off
	global_load_dword v41, v[16:17], off offset:256
	global_load_dword v36, v[16:17], off offset:512
	;; [unrolled: 1-line block ×5, first 2 shown]
	v_bfe_u32 v0, v0, 20, 10
	v_mad_u32_u24 v19, v0, s4, v15
	s_lshl_b32 s0, -1, s9
	v_mov_b32_e32 v1, v5
	v_mov_b32_e32 v12, v5
	;; [unrolled: 1-line block ×3, first 2 shown]
	s_not_b32 s9, s0
	s_waitcnt lgkmcnt(0)
	s_barrier
	s_waitcnt vmcnt(22)
	; wave barrier
	v_xor_b32_e32 v11, 0x7fffffff, v13
	v_lshrrev_b32_e32 v0, s8, v11
	v_bitop3_b32 v20, v0, s0, v0 bitop3:0x30
	v_and_b32_e32 v0, 1, v20
	v_lshlrev_b32_e32 v13, 30, v20
	v_lshlrev_b32_e32 v15, 29, v20
	s_waitcnt vmcnt(21)
	v_mad_u64_u32 v[16:17], s[0:1], v19, v18, v[2:3]
	v_lshl_add_u64 v[18:19], v[0:1], 0, -1
	v_cmp_ne_u32_e32 vcc, 0, v0
	v_not_b32_e32 v0, v13
	v_cmp_gt_i64_e64 s[0:1], 0, v[12:13]
	v_cmp_gt_i64_e64 s[4:5], 0, v[14:15]
	v_not_b32_e32 v1, v15
	v_xor_b32_e32 v13, vcc_hi, v19
	v_xor_b32_e32 v14, vcc_lo, v18
	v_ashrrev_i32_e32 v0, 31, v0
	v_ashrrev_i32_e32 v1, 31, v1
	v_and_b32_e32 v13, exec_hi, v13
	v_and_b32_e32 v14, exec_lo, v14
	v_xor_b32_e32 v15, s1, v0
	v_xor_b32_e32 v0, s0, v0
	v_and_b32_e32 v13, v13, v15
	v_and_b32_e32 v0, v14, v0
	v_xor_b32_e32 v14, s5, v1
	v_xor_b32_e32 v1, s4, v1
	v_and_b32_e32 v13, v13, v14
	v_and_b32_e32 v14, v0, v1
	v_lshlrev_b32_e32 v1, 28, v20
	v_mov_b32_e32 v0, v5
	v_cmp_gt_i64_e32 vcc, 0, v[0:1]
	v_not_b32_e32 v0, v1
	v_ashrrev_i32_e32 v0, 31, v0
	v_xor_b32_e32 v1, vcc_hi, v0
	v_xor_b32_e32 v0, vcc_lo, v0
	v_and_b32_e32 v13, v13, v1
	v_and_b32_e32 v14, v14, v0
	v_lshlrev_b32_e32 v1, 27, v20
	v_mov_b32_e32 v0, v5
	v_cmp_gt_i64_e32 vcc, 0, v[0:1]
	v_not_b32_e32 v0, v1
	v_ashrrev_i32_e32 v0, 31, v0
	v_xor_b32_e32 v1, vcc_hi, v0
	v_xor_b32_e32 v0, vcc_lo, v0
	;; [unrolled: 9-line block ×5, first 2 shown]
	v_and_b32_e32 v0, v14, v0
	v_and_b32_e32 v1, v13, v1
	v_mbcnt_lo_u32_b32 v13, v0, 0
	v_mbcnt_hi_u32_b32 v14, v1, v13
	v_mul_lo_u32 v23, v20, 20
	v_lshrrev_b32_e32 v21, 6, v16
	v_cmp_eq_u32_e32 vcc, 0, v14
	v_cmp_ne_u64_e64 s[0:1], 0, v[0:1]
	v_lshl_add_u32 v12, v21, 2, v23
	s_and_b64 s[4:5], s[0:1], vcc
	s_and_saveexec_b64 s[0:1], s[4:5]
; %bb.286:
	v_bcnt_u32_b32 v0, v0, 0
	v_bcnt_u32_b32 v0, v1, v0
	ds_write_b32 v12, v0 offset:16
; %bb.287:
	s_or_b64 exec, exec, s[0:1]
	s_waitcnt vmcnt(20)
	v_xor_b32_e32 v13, 0x7fffffff, v9
	v_lshrrev_b32_e32 v0, s8, v13
	v_and_b32_e32 v9, s9, v0
	v_mul_lo_u32 v0, v9, 20
	v_lshl_add_u32 v16, v21, 2, v0
	v_and_b32_e32 v0, 1, v9
	v_mov_b32_e32 v1, v5
	v_lshl_add_u64 v[18:19], v[0:1], 0, -1
	v_cmp_ne_u32_e32 vcc, 0, v0
	; wave barrier
	s_nop 1
	v_xor_b32_e32 v0, vcc_hi, v19
	v_xor_b32_e32 v1, vcc_lo, v18
	v_and_b32_e32 v17, exec_hi, v0
	v_and_b32_e32 v18, exec_lo, v1
	v_lshlrev_b32_e32 v1, 30, v9
	v_mov_b32_e32 v0, v5
	v_cmp_gt_i64_e32 vcc, 0, v[0:1]
	v_not_b32_e32 v0, v1
	v_ashrrev_i32_e32 v0, 31, v0
	v_xor_b32_e32 v1, vcc_hi, v0
	v_xor_b32_e32 v0, vcc_lo, v0
	v_and_b32_e32 v17, v17, v1
	v_and_b32_e32 v18, v18, v0
	v_lshlrev_b32_e32 v1, 29, v9
	v_mov_b32_e32 v0, v5
	v_cmp_gt_i64_e32 vcc, 0, v[0:1]
	v_not_b32_e32 v0, v1
	v_ashrrev_i32_e32 v0, 31, v0
	v_xor_b32_e32 v1, vcc_hi, v0
	v_xor_b32_e32 v0, vcc_lo, v0
	v_and_b32_e32 v17, v17, v1
	v_and_b32_e32 v18, v18, v0
	;; [unrolled: 9-line block ×6, first 2 shown]
	v_lshlrev_b32_e32 v1, 24, v9
	v_mov_b32_e32 v0, v5
	v_cmp_gt_i64_e32 vcc, 0, v[0:1]
	v_not_b32_e32 v0, v1
	v_ashrrev_i32_e32 v0, 31, v0
	v_xor_b32_e32 v1, vcc_hi, v0
	v_xor_b32_e32 v0, vcc_lo, v0
	ds_read_b32 v15, v16 offset:16
	v_and_b32_e32 v0, v18, v0
	v_and_b32_e32 v1, v17, v1
	v_mbcnt_lo_u32_b32 v9, v0, 0
	v_mbcnt_hi_u32_b32 v18, v1, v9
	v_cmp_eq_u32_e32 vcc, 0, v18
	v_cmp_ne_u64_e64 s[0:1], 0, v[0:1]
	s_and_b64 s[4:5], s[0:1], vcc
	; wave barrier
	s_and_saveexec_b64 s[0:1], s[4:5]
	s_cbranch_execz .LBB15_289
; %bb.288:
	v_bcnt_u32_b32 v0, v0, 0
	v_bcnt_u32_b32 v0, v1, v0
	s_waitcnt lgkmcnt(0)
	v_add_u32_e32 v0, v15, v0
	ds_write_b32 v16, v0 offset:16
.LBB15_289:
	s_or_b64 exec, exec, s[0:1]
	s_waitcnt vmcnt(19)
	v_xor_b32_e32 v17, 0x7fffffff, v8
	v_lshrrev_b32_e32 v0, s8, v17
	v_and_b32_e32 v23, s9, v0
	v_mul_lo_u32 v0, v23, 20
	v_lshl_add_u32 v20, v21, 2, v0
	v_and_b32_e32 v0, 1, v23
	v_mov_b32_e32 v1, 0
	v_lshl_add_u64 v[8:9], v[0:1], 0, -1
	v_cmp_ne_u32_e32 vcc, 0, v0
	; wave barrier
	s_nop 1
	v_xor_b32_e32 v8, vcc_lo, v8
	v_xor_b32_e32 v0, vcc_hi, v9
	v_and_b32_e32 v24, exec_lo, v8
	v_lshlrev_b32_e32 v9, 30, v23
	v_mov_b32_e32 v8, v1
	v_cmp_gt_i64_e32 vcc, 0, v[8:9]
	v_not_b32_e32 v8, v9
	v_ashrrev_i32_e32 v8, 31, v8
	v_and_b32_e32 v0, exec_hi, v0
	v_xor_b32_e32 v9, vcc_hi, v8
	v_xor_b32_e32 v8, vcc_lo, v8
	v_and_b32_e32 v0, v0, v9
	v_and_b32_e32 v24, v24, v8
	v_lshlrev_b32_e32 v9, 29, v23
	v_mov_b32_e32 v8, v1
	v_cmp_gt_i64_e32 vcc, 0, v[8:9]
	v_not_b32_e32 v8, v9
	v_ashrrev_i32_e32 v8, 31, v8
	v_xor_b32_e32 v9, vcc_hi, v8
	v_xor_b32_e32 v8, vcc_lo, v8
	v_and_b32_e32 v0, v0, v9
	v_and_b32_e32 v24, v24, v8
	v_lshlrev_b32_e32 v9, 28, v23
	v_mov_b32_e32 v8, v1
	v_cmp_gt_i64_e32 vcc, 0, v[8:9]
	v_not_b32_e32 v8, v9
	v_ashrrev_i32_e32 v8, 31, v8
	;; [unrolled: 9-line block ×6, first 2 shown]
	v_xor_b32_e32 v9, vcc_hi, v8
	v_xor_b32_e32 v8, vcc_lo, v8
	ds_read_b32 v19, v20 offset:16
	v_and_b32_e32 v8, v24, v8
	v_and_b32_e32 v9, v0, v9
	v_mbcnt_lo_u32_b32 v0, v8, 0
	v_mbcnt_hi_u32_b32 v23, v9, v0
	v_cmp_eq_u32_e32 vcc, 0, v23
	v_cmp_ne_u64_e64 s[0:1], 0, v[8:9]
	s_and_b64 s[4:5], s[0:1], vcc
	; wave barrier
	s_and_saveexec_b64 s[0:1], s[4:5]
	s_cbranch_execz .LBB15_291
; %bb.290:
	v_bcnt_u32_b32 v0, v8, 0
	v_bcnt_u32_b32 v0, v9, v0
	s_waitcnt lgkmcnt(0)
	v_add_u32_e32 v0, v19, v0
	ds_write_b32 v20, v0 offset:16
.LBB15_291:
	s_or_b64 exec, exec, s[0:1]
	s_waitcnt vmcnt(18)
	v_xor_b32_e32 v22, 0x7fffffff, v22
	v_lshrrev_b32_e32 v0, s8, v22
	v_and_b32_e32 v28, s9, v0
	v_mul_lo_u32 v0, v28, 20
	v_lshl_add_u32 v25, v21, 2, v0
	v_and_b32_e32 v0, 1, v28
	v_lshl_add_u64 v[8:9], v[0:1], 0, -1
	v_cmp_ne_u32_e32 vcc, 0, v0
	; wave barrier
	s_nop 1
	v_xor_b32_e32 v8, vcc_lo, v8
	v_xor_b32_e32 v0, vcc_hi, v9
	v_and_b32_e32 v29, exec_lo, v8
	v_lshlrev_b32_e32 v9, 30, v28
	v_mov_b32_e32 v8, v1
	v_cmp_gt_i64_e32 vcc, 0, v[8:9]
	v_not_b32_e32 v8, v9
	v_ashrrev_i32_e32 v8, 31, v8
	v_and_b32_e32 v0, exec_hi, v0
	v_xor_b32_e32 v9, vcc_hi, v8
	v_xor_b32_e32 v8, vcc_lo, v8
	v_and_b32_e32 v0, v0, v9
	v_and_b32_e32 v29, v29, v8
	v_lshlrev_b32_e32 v9, 29, v28
	v_mov_b32_e32 v8, v1
	v_cmp_gt_i64_e32 vcc, 0, v[8:9]
	v_not_b32_e32 v8, v9
	v_ashrrev_i32_e32 v8, 31, v8
	v_xor_b32_e32 v9, vcc_hi, v8
	v_xor_b32_e32 v8, vcc_lo, v8
	v_and_b32_e32 v0, v0, v9
	v_and_b32_e32 v29, v29, v8
	v_lshlrev_b32_e32 v9, 28, v28
	v_mov_b32_e32 v8, v1
	v_cmp_gt_i64_e32 vcc, 0, v[8:9]
	v_not_b32_e32 v8, v9
	v_ashrrev_i32_e32 v8, 31, v8
	v_xor_b32_e32 v9, vcc_hi, v8
	v_xor_b32_e32 v8, vcc_lo, v8
	v_and_b32_e32 v0, v0, v9
	v_and_b32_e32 v29, v29, v8
	v_lshlrev_b32_e32 v9, 27, v28
	v_mov_b32_e32 v8, v1
	v_cmp_gt_i64_e32 vcc, 0, v[8:9]
	v_not_b32_e32 v8, v9
	v_ashrrev_i32_e32 v8, 31, v8
	v_xor_b32_e32 v9, vcc_hi, v8
	v_xor_b32_e32 v8, vcc_lo, v8
	v_and_b32_e32 v0, v0, v9
	v_and_b32_e32 v29, v29, v8
	v_lshlrev_b32_e32 v9, 26, v28
	v_mov_b32_e32 v8, v1
	v_cmp_gt_i64_e32 vcc, 0, v[8:9]
	v_not_b32_e32 v8, v9
	v_ashrrev_i32_e32 v8, 31, v8
	v_xor_b32_e32 v9, vcc_hi, v8
	v_xor_b32_e32 v8, vcc_lo, v8
	v_and_b32_e32 v0, v0, v9
	v_and_b32_e32 v29, v29, v8
	v_lshlrev_b32_e32 v9, 25, v28
	v_mov_b32_e32 v8, v1
	v_cmp_gt_i64_e32 vcc, 0, v[8:9]
	v_not_b32_e32 v8, v9
	v_ashrrev_i32_e32 v8, 31, v8
	v_xor_b32_e32 v9, vcc_hi, v8
	v_xor_b32_e32 v8, vcc_lo, v8
	v_and_b32_e32 v0, v0, v9
	v_lshlrev_b32_e32 v9, 24, v28
	v_and_b32_e32 v29, v29, v8
	v_mov_b32_e32 v8, v1
	v_not_b32_e32 v1, v9
	v_cmp_gt_i64_e32 vcc, 0, v[8:9]
	v_ashrrev_i32_e32 v1, 31, v1
	ds_read_b32 v24, v25 offset:16
	v_xor_b32_e32 v8, vcc_hi, v1
	v_xor_b32_e32 v9, vcc_lo, v1
	v_and_b32_e32 v1, v0, v8
	v_and_b32_e32 v0, v29, v9
	v_mbcnt_lo_u32_b32 v8, v0, 0
	v_mbcnt_hi_u32_b32 v28, v1, v8
	v_cmp_eq_u32_e32 vcc, 0, v28
	v_cmp_ne_u64_e64 s[0:1], 0, v[0:1]
	s_and_b64 s[4:5], s[0:1], vcc
	; wave barrier
	s_and_saveexec_b64 s[0:1], s[4:5]
	s_cbranch_execz .LBB15_293
; %bb.292:
	v_bcnt_u32_b32 v0, v0, 0
	v_bcnt_u32_b32 v0, v1, v0
	s_waitcnt lgkmcnt(0)
	v_add_u32_e32 v0, v24, v0
	ds_write_b32 v25, v0 offset:16
.LBB15_293:
	s_or_b64 exec, exec, s[0:1]
	s_waitcnt vmcnt(17)
	v_xor_b32_e32 v27, 0x7fffffff, v27
	v_lshrrev_b32_e32 v0, s8, v27
	v_and_b32_e32 v33, s9, v0
	v_mul_lo_u32 v0, v33, 20
	v_lshl_add_u32 v30, v21, 2, v0
	v_and_b32_e32 v0, 1, v33
	v_mov_b32_e32 v1, 0
	v_lshl_add_u64 v[8:9], v[0:1], 0, -1
	v_cmp_ne_u32_e32 vcc, 0, v0
	; wave barrier
	s_nop 1
	v_xor_b32_e32 v8, vcc_lo, v8
	v_xor_b32_e32 v0, vcc_hi, v9
	v_and_b32_e32 v34, exec_lo, v8
	v_lshlrev_b32_e32 v9, 30, v33
	v_mov_b32_e32 v8, v1
	v_cmp_gt_i64_e32 vcc, 0, v[8:9]
	v_not_b32_e32 v8, v9
	v_ashrrev_i32_e32 v8, 31, v8
	v_and_b32_e32 v0, exec_hi, v0
	v_xor_b32_e32 v9, vcc_hi, v8
	v_xor_b32_e32 v8, vcc_lo, v8
	v_and_b32_e32 v0, v0, v9
	v_and_b32_e32 v34, v34, v8
	v_lshlrev_b32_e32 v9, 29, v33
	v_mov_b32_e32 v8, v1
	v_cmp_gt_i64_e32 vcc, 0, v[8:9]
	v_not_b32_e32 v8, v9
	v_ashrrev_i32_e32 v8, 31, v8
	v_xor_b32_e32 v9, vcc_hi, v8
	v_xor_b32_e32 v8, vcc_lo, v8
	v_and_b32_e32 v0, v0, v9
	v_and_b32_e32 v34, v34, v8
	v_lshlrev_b32_e32 v9, 28, v33
	v_mov_b32_e32 v8, v1
	v_cmp_gt_i64_e32 vcc, 0, v[8:9]
	v_not_b32_e32 v8, v9
	v_ashrrev_i32_e32 v8, 31, v8
	;; [unrolled: 9-line block ×6, first 2 shown]
	v_xor_b32_e32 v9, vcc_hi, v8
	v_xor_b32_e32 v8, vcc_lo, v8
	ds_read_b32 v29, v30 offset:16
	v_and_b32_e32 v8, v34, v8
	v_and_b32_e32 v9, v0, v9
	v_mbcnt_lo_u32_b32 v0, v8, 0
	v_mbcnt_hi_u32_b32 v33, v9, v0
	v_cmp_eq_u32_e32 vcc, 0, v33
	v_cmp_ne_u64_e64 s[0:1], 0, v[8:9]
	s_and_b64 s[4:5], s[0:1], vcc
	; wave barrier
	s_and_saveexec_b64 s[0:1], s[4:5]
	s_cbranch_execz .LBB15_295
; %bb.294:
	v_bcnt_u32_b32 v0, v8, 0
	v_bcnt_u32_b32 v0, v9, v0
	s_waitcnt lgkmcnt(0)
	v_add_u32_e32 v0, v29, v0
	ds_write_b32 v30, v0 offset:16
.LBB15_295:
	s_or_b64 exec, exec, s[0:1]
	s_waitcnt vmcnt(16)
	v_xor_b32_e32 v32, 0x7fffffff, v32
	v_lshrrev_b32_e32 v0, s8, v32
	v_and_b32_e32 v38, s9, v0
	v_mul_lo_u32 v0, v38, 20
	v_lshl_add_u32 v35, v21, 2, v0
	v_and_b32_e32 v0, 1, v38
	v_lshl_add_u64 v[8:9], v[0:1], 0, -1
	v_cmp_ne_u32_e32 vcc, 0, v0
	; wave barrier
	s_nop 1
	v_xor_b32_e32 v8, vcc_lo, v8
	v_xor_b32_e32 v0, vcc_hi, v9
	v_and_b32_e32 v39, exec_lo, v8
	v_lshlrev_b32_e32 v9, 30, v38
	v_mov_b32_e32 v8, v1
	v_cmp_gt_i64_e32 vcc, 0, v[8:9]
	v_not_b32_e32 v8, v9
	v_ashrrev_i32_e32 v8, 31, v8
	v_and_b32_e32 v0, exec_hi, v0
	v_xor_b32_e32 v9, vcc_hi, v8
	v_xor_b32_e32 v8, vcc_lo, v8
	v_and_b32_e32 v0, v0, v9
	v_and_b32_e32 v39, v39, v8
	v_lshlrev_b32_e32 v9, 29, v38
	v_mov_b32_e32 v8, v1
	v_cmp_gt_i64_e32 vcc, 0, v[8:9]
	v_not_b32_e32 v8, v9
	v_ashrrev_i32_e32 v8, 31, v8
	v_xor_b32_e32 v9, vcc_hi, v8
	v_xor_b32_e32 v8, vcc_lo, v8
	v_and_b32_e32 v0, v0, v9
	v_and_b32_e32 v39, v39, v8
	v_lshlrev_b32_e32 v9, 28, v38
	v_mov_b32_e32 v8, v1
	v_cmp_gt_i64_e32 vcc, 0, v[8:9]
	v_not_b32_e32 v8, v9
	v_ashrrev_i32_e32 v8, 31, v8
	;; [unrolled: 9-line block ×5, first 2 shown]
	v_xor_b32_e32 v9, vcc_hi, v8
	v_xor_b32_e32 v8, vcc_lo, v8
	v_and_b32_e32 v0, v0, v9
	v_lshlrev_b32_e32 v9, 24, v38
	v_and_b32_e32 v39, v39, v8
	v_mov_b32_e32 v8, v1
	v_not_b32_e32 v1, v9
	v_cmp_gt_i64_e32 vcc, 0, v[8:9]
	v_ashrrev_i32_e32 v1, 31, v1
	ds_read_b32 v34, v35 offset:16
	v_xor_b32_e32 v8, vcc_hi, v1
	v_xor_b32_e32 v9, vcc_lo, v1
	v_and_b32_e32 v1, v0, v8
	v_and_b32_e32 v0, v39, v9
	v_mbcnt_lo_u32_b32 v8, v0, 0
	v_mbcnt_hi_u32_b32 v38, v1, v8
	v_cmp_eq_u32_e32 vcc, 0, v38
	v_cmp_ne_u64_e64 s[0:1], 0, v[0:1]
	s_and_b64 s[4:5], s[0:1], vcc
	; wave barrier
	s_and_saveexec_b64 s[0:1], s[4:5]
	s_cbranch_execz .LBB15_297
; %bb.296:
	v_bcnt_u32_b32 v0, v0, 0
	v_bcnt_u32_b32 v0, v1, v0
	s_waitcnt lgkmcnt(0)
	v_add_u32_e32 v0, v34, v0
	ds_write_b32 v35, v0 offset:16
.LBB15_297:
	s_or_b64 exec, exec, s[0:1]
	s_waitcnt vmcnt(15)
	v_xor_b32_e32 v37, 0x7fffffff, v37
	v_lshrrev_b32_e32 v0, s8, v37
	v_and_b32_e32 v43, s9, v0
	v_mul_lo_u32 v0, v43, 20
	v_lshl_add_u32 v40, v21, 2, v0
	v_and_b32_e32 v0, 1, v43
	v_mov_b32_e32 v1, 0
	v_lshl_add_u64 v[8:9], v[0:1], 0, -1
	v_cmp_ne_u32_e32 vcc, 0, v0
	; wave barrier
	s_nop 1
	v_xor_b32_e32 v8, vcc_lo, v8
	v_xor_b32_e32 v0, vcc_hi, v9
	v_and_b32_e32 v44, exec_lo, v8
	v_lshlrev_b32_e32 v9, 30, v43
	v_mov_b32_e32 v8, v1
	v_cmp_gt_i64_e32 vcc, 0, v[8:9]
	v_not_b32_e32 v8, v9
	v_ashrrev_i32_e32 v8, 31, v8
	v_and_b32_e32 v0, exec_hi, v0
	v_xor_b32_e32 v9, vcc_hi, v8
	v_xor_b32_e32 v8, vcc_lo, v8
	v_and_b32_e32 v0, v0, v9
	v_and_b32_e32 v44, v44, v8
	v_lshlrev_b32_e32 v9, 29, v43
	v_mov_b32_e32 v8, v1
	v_cmp_gt_i64_e32 vcc, 0, v[8:9]
	v_not_b32_e32 v8, v9
	v_ashrrev_i32_e32 v8, 31, v8
	v_xor_b32_e32 v9, vcc_hi, v8
	v_xor_b32_e32 v8, vcc_lo, v8
	v_and_b32_e32 v0, v0, v9
	v_and_b32_e32 v44, v44, v8
	v_lshlrev_b32_e32 v9, 28, v43
	v_mov_b32_e32 v8, v1
	v_cmp_gt_i64_e32 vcc, 0, v[8:9]
	v_not_b32_e32 v8, v9
	v_ashrrev_i32_e32 v8, 31, v8
	;; [unrolled: 9-line block ×6, first 2 shown]
	v_xor_b32_e32 v9, vcc_hi, v8
	v_xor_b32_e32 v8, vcc_lo, v8
	ds_read_b32 v39, v40 offset:16
	v_and_b32_e32 v8, v44, v8
	v_and_b32_e32 v9, v0, v9
	v_mbcnt_lo_u32_b32 v0, v8, 0
	v_mbcnt_hi_u32_b32 v43, v9, v0
	v_cmp_eq_u32_e32 vcc, 0, v43
	v_cmp_ne_u64_e64 s[0:1], 0, v[8:9]
	s_and_b64 s[4:5], s[0:1], vcc
	; wave barrier
	s_and_saveexec_b64 s[0:1], s[4:5]
	s_cbranch_execz .LBB15_299
; %bb.298:
	v_bcnt_u32_b32 v0, v8, 0
	v_bcnt_u32_b32 v0, v9, v0
	s_waitcnt lgkmcnt(0)
	v_add_u32_e32 v0, v39, v0
	ds_write_b32 v40, v0 offset:16
.LBB15_299:
	s_or_b64 exec, exec, s[0:1]
	s_waitcnt vmcnt(14)
	v_xor_b32_e32 v42, 0x7fffffff, v42
	v_lshrrev_b32_e32 v0, s8, v42
	v_and_b32_e32 v48, s9, v0
	v_mul_lo_u32 v0, v48, 20
	v_lshl_add_u32 v46, v21, 2, v0
	v_and_b32_e32 v0, 1, v48
	v_lshl_add_u64 v[8:9], v[0:1], 0, -1
	v_cmp_ne_u32_e32 vcc, 0, v0
	; wave barrier
	s_nop 1
	v_xor_b32_e32 v8, vcc_lo, v8
	v_xor_b32_e32 v0, vcc_hi, v9
	v_and_b32_e32 v49, exec_lo, v8
	v_lshlrev_b32_e32 v9, 30, v48
	v_mov_b32_e32 v8, v1
	v_cmp_gt_i64_e32 vcc, 0, v[8:9]
	v_not_b32_e32 v8, v9
	v_ashrrev_i32_e32 v8, 31, v8
	v_and_b32_e32 v0, exec_hi, v0
	v_xor_b32_e32 v9, vcc_hi, v8
	v_xor_b32_e32 v8, vcc_lo, v8
	v_and_b32_e32 v0, v0, v9
	v_and_b32_e32 v49, v49, v8
	v_lshlrev_b32_e32 v9, 29, v48
	v_mov_b32_e32 v8, v1
	v_cmp_gt_i64_e32 vcc, 0, v[8:9]
	v_not_b32_e32 v8, v9
	v_ashrrev_i32_e32 v8, 31, v8
	v_xor_b32_e32 v9, vcc_hi, v8
	v_xor_b32_e32 v8, vcc_lo, v8
	v_and_b32_e32 v0, v0, v9
	v_and_b32_e32 v49, v49, v8
	v_lshlrev_b32_e32 v9, 28, v48
	v_mov_b32_e32 v8, v1
	v_cmp_gt_i64_e32 vcc, 0, v[8:9]
	v_not_b32_e32 v8, v9
	v_ashrrev_i32_e32 v8, 31, v8
	;; [unrolled: 9-line block ×5, first 2 shown]
	v_xor_b32_e32 v9, vcc_hi, v8
	v_xor_b32_e32 v8, vcc_lo, v8
	v_and_b32_e32 v0, v0, v9
	v_lshlrev_b32_e32 v9, 24, v48
	v_and_b32_e32 v49, v49, v8
	v_mov_b32_e32 v8, v1
	v_not_b32_e32 v1, v9
	v_cmp_gt_i64_e32 vcc, 0, v[8:9]
	v_ashrrev_i32_e32 v1, 31, v1
	ds_read_b32 v44, v46 offset:16
	v_xor_b32_e32 v8, vcc_hi, v1
	v_xor_b32_e32 v9, vcc_lo, v1
	v_and_b32_e32 v1, v0, v8
	v_and_b32_e32 v0, v49, v9
	v_mbcnt_lo_u32_b32 v8, v0, 0
	v_mbcnt_hi_u32_b32 v48, v1, v8
	v_cmp_eq_u32_e32 vcc, 0, v48
	v_cmp_ne_u64_e64 s[0:1], 0, v[0:1]
	s_and_b64 s[4:5], s[0:1], vcc
	; wave barrier
	s_and_saveexec_b64 s[0:1], s[4:5]
	s_cbranch_execz .LBB15_301
; %bb.300:
	v_bcnt_u32_b32 v0, v0, 0
	v_bcnt_u32_b32 v0, v1, v0
	s_waitcnt lgkmcnt(0)
	v_add_u32_e32 v0, v44, v0
	ds_write_b32 v46, v0 offset:16
.LBB15_301:
	s_or_b64 exec, exec, s[0:1]
	s_waitcnt vmcnt(13)
	v_xor_b32_e32 v47, 0x7fffffff, v47
	v_lshrrev_b32_e32 v0, s8, v47
	v_and_b32_e32 v53, s9, v0
	v_mul_lo_u32 v0, v53, 20
	v_lshl_add_u32 v51, v21, 2, v0
	v_and_b32_e32 v0, 1, v53
	v_mov_b32_e32 v1, 0
	v_lshl_add_u64 v[8:9], v[0:1], 0, -1
	v_cmp_ne_u32_e32 vcc, 0, v0
	; wave barrier
	s_nop 1
	v_xor_b32_e32 v8, vcc_lo, v8
	v_xor_b32_e32 v0, vcc_hi, v9
	v_and_b32_e32 v54, exec_lo, v8
	v_lshlrev_b32_e32 v9, 30, v53
	v_mov_b32_e32 v8, v1
	v_cmp_gt_i64_e32 vcc, 0, v[8:9]
	v_not_b32_e32 v8, v9
	v_ashrrev_i32_e32 v8, 31, v8
	v_and_b32_e32 v0, exec_hi, v0
	v_xor_b32_e32 v9, vcc_hi, v8
	v_xor_b32_e32 v8, vcc_lo, v8
	v_and_b32_e32 v0, v0, v9
	v_and_b32_e32 v54, v54, v8
	v_lshlrev_b32_e32 v9, 29, v53
	v_mov_b32_e32 v8, v1
	v_cmp_gt_i64_e32 vcc, 0, v[8:9]
	v_not_b32_e32 v8, v9
	v_ashrrev_i32_e32 v8, 31, v8
	v_xor_b32_e32 v9, vcc_hi, v8
	v_xor_b32_e32 v8, vcc_lo, v8
	v_and_b32_e32 v0, v0, v9
	v_and_b32_e32 v54, v54, v8
	v_lshlrev_b32_e32 v9, 28, v53
	v_mov_b32_e32 v8, v1
	v_cmp_gt_i64_e32 vcc, 0, v[8:9]
	v_not_b32_e32 v8, v9
	v_ashrrev_i32_e32 v8, 31, v8
	v_xor_b32_e32 v9, vcc_hi, v8
	v_xor_b32_e32 v8, vcc_lo, v8
	v_and_b32_e32 v0, v0, v9
	v_and_b32_e32 v54, v54, v8
	v_lshlrev_b32_e32 v9, 27, v53
	v_mov_b32_e32 v8, v1
	v_cmp_gt_i64_e32 vcc, 0, v[8:9]
	v_not_b32_e32 v8, v9
	v_ashrrev_i32_e32 v8, 31, v8
	v_xor_b32_e32 v9, vcc_hi, v8
	v_xor_b32_e32 v8, vcc_lo, v8
	v_and_b32_e32 v0, v0, v9
	v_and_b32_e32 v54, v54, v8
	v_lshlrev_b32_e32 v9, 26, v53
	v_mov_b32_e32 v8, v1
	v_cmp_gt_i64_e32 vcc, 0, v[8:9]
	v_not_b32_e32 v8, v9
	v_ashrrev_i32_e32 v8, 31, v8
	v_xor_b32_e32 v9, vcc_hi, v8
	v_xor_b32_e32 v8, vcc_lo, v8
	v_and_b32_e32 v0, v0, v9
	v_and_b32_e32 v54, v54, v8
	v_lshlrev_b32_e32 v9, 25, v53
	v_mov_b32_e32 v8, v1
	v_cmp_gt_i64_e32 vcc, 0, v[8:9]
	v_not_b32_e32 v8, v9
	v_ashrrev_i32_e32 v8, 31, v8
	v_xor_b32_e32 v9, vcc_hi, v8
	v_xor_b32_e32 v8, vcc_lo, v8
	v_and_b32_e32 v0, v0, v9
	v_and_b32_e32 v54, v54, v8
	v_lshlrev_b32_e32 v9, 24, v53
	v_mov_b32_e32 v8, v1
	v_cmp_gt_i64_e32 vcc, 0, v[8:9]
	v_not_b32_e32 v8, v9
	v_ashrrev_i32_e32 v8, 31, v8
	v_xor_b32_e32 v9, vcc_hi, v8
	v_xor_b32_e32 v8, vcc_lo, v8
	ds_read_b32 v49, v51 offset:16
	v_and_b32_e32 v8, v54, v8
	v_and_b32_e32 v9, v0, v9
	v_mbcnt_lo_u32_b32 v0, v8, 0
	v_mbcnt_hi_u32_b32 v53, v9, v0
	v_cmp_eq_u32_e32 vcc, 0, v53
	v_cmp_ne_u64_e64 s[0:1], 0, v[8:9]
	s_and_b64 s[4:5], s[0:1], vcc
	; wave barrier
	s_and_saveexec_b64 s[0:1], s[4:5]
	s_cbranch_execz .LBB15_303
; %bb.302:
	v_bcnt_u32_b32 v0, v8, 0
	v_bcnt_u32_b32 v0, v9, v0
	s_waitcnt lgkmcnt(0)
	v_add_u32_e32 v0, v49, v0
	ds_write_b32 v51, v0 offset:16
.LBB15_303:
	s_or_b64 exec, exec, s[0:1]
	s_waitcnt vmcnt(12)
	v_xor_b32_e32 v52, 0x7fffffff, v52
	v_lshrrev_b32_e32 v0, s8, v52
	v_and_b32_e32 v58, s9, v0
	v_mul_lo_u32 v0, v58, 20
	v_lshl_add_u32 v56, v21, 2, v0
	v_and_b32_e32 v0, 1, v58
	v_lshl_add_u64 v[8:9], v[0:1], 0, -1
	v_cmp_ne_u32_e32 vcc, 0, v0
	; wave barrier
	s_nop 1
	v_xor_b32_e32 v8, vcc_lo, v8
	v_xor_b32_e32 v0, vcc_hi, v9
	v_and_b32_e32 v59, exec_lo, v8
	v_lshlrev_b32_e32 v9, 30, v58
	v_mov_b32_e32 v8, v1
	v_cmp_gt_i64_e32 vcc, 0, v[8:9]
	v_not_b32_e32 v8, v9
	v_ashrrev_i32_e32 v8, 31, v8
	v_and_b32_e32 v0, exec_hi, v0
	v_xor_b32_e32 v9, vcc_hi, v8
	v_xor_b32_e32 v8, vcc_lo, v8
	v_and_b32_e32 v0, v0, v9
	v_and_b32_e32 v59, v59, v8
	v_lshlrev_b32_e32 v9, 29, v58
	v_mov_b32_e32 v8, v1
	v_cmp_gt_i64_e32 vcc, 0, v[8:9]
	v_not_b32_e32 v8, v9
	v_ashrrev_i32_e32 v8, 31, v8
	v_xor_b32_e32 v9, vcc_hi, v8
	v_xor_b32_e32 v8, vcc_lo, v8
	v_and_b32_e32 v0, v0, v9
	v_and_b32_e32 v59, v59, v8
	v_lshlrev_b32_e32 v9, 28, v58
	v_mov_b32_e32 v8, v1
	v_cmp_gt_i64_e32 vcc, 0, v[8:9]
	v_not_b32_e32 v8, v9
	v_ashrrev_i32_e32 v8, 31, v8
	;; [unrolled: 9-line block ×5, first 2 shown]
	v_xor_b32_e32 v9, vcc_hi, v8
	v_xor_b32_e32 v8, vcc_lo, v8
	v_and_b32_e32 v0, v0, v9
	v_lshlrev_b32_e32 v9, 24, v58
	v_and_b32_e32 v59, v59, v8
	v_mov_b32_e32 v8, v1
	v_not_b32_e32 v1, v9
	v_cmp_gt_i64_e32 vcc, 0, v[8:9]
	v_ashrrev_i32_e32 v1, 31, v1
	ds_read_b32 v54, v56 offset:16
	v_xor_b32_e32 v8, vcc_hi, v1
	v_xor_b32_e32 v9, vcc_lo, v1
	v_and_b32_e32 v1, v0, v8
	v_and_b32_e32 v0, v59, v9
	v_mbcnt_lo_u32_b32 v8, v0, 0
	v_mbcnt_hi_u32_b32 v58, v1, v8
	v_cmp_eq_u32_e32 vcc, 0, v58
	v_cmp_ne_u64_e64 s[0:1], 0, v[0:1]
	s_and_b64 s[4:5], s[0:1], vcc
	; wave barrier
	s_and_saveexec_b64 s[0:1], s[4:5]
	s_cbranch_execz .LBB15_305
; %bb.304:
	v_bcnt_u32_b32 v0, v0, 0
	v_bcnt_u32_b32 v0, v1, v0
	s_waitcnt lgkmcnt(0)
	v_add_u32_e32 v0, v54, v0
	ds_write_b32 v56, v0 offset:16
.LBB15_305:
	s_or_b64 exec, exec, s[0:1]
	s_waitcnt vmcnt(11)
	v_xor_b32_e32 v57, 0x7fffffff, v57
	v_lshrrev_b32_e32 v0, s8, v57
	v_and_b32_e32 v63, s9, v0
	v_mul_lo_u32 v0, v63, 20
	v_lshl_add_u32 v61, v21, 2, v0
	v_and_b32_e32 v0, 1, v63
	v_mov_b32_e32 v1, 0
	v_lshl_add_u64 v[8:9], v[0:1], 0, -1
	v_cmp_ne_u32_e32 vcc, 0, v0
	; wave barrier
	s_nop 1
	v_xor_b32_e32 v8, vcc_lo, v8
	v_xor_b32_e32 v0, vcc_hi, v9
	v_and_b32_e32 v64, exec_lo, v8
	v_lshlrev_b32_e32 v9, 30, v63
	v_mov_b32_e32 v8, v1
	v_cmp_gt_i64_e32 vcc, 0, v[8:9]
	v_not_b32_e32 v8, v9
	v_ashrrev_i32_e32 v8, 31, v8
	v_and_b32_e32 v0, exec_hi, v0
	v_xor_b32_e32 v9, vcc_hi, v8
	v_xor_b32_e32 v8, vcc_lo, v8
	v_and_b32_e32 v0, v0, v9
	v_and_b32_e32 v64, v64, v8
	v_lshlrev_b32_e32 v9, 29, v63
	v_mov_b32_e32 v8, v1
	v_cmp_gt_i64_e32 vcc, 0, v[8:9]
	v_not_b32_e32 v8, v9
	v_ashrrev_i32_e32 v8, 31, v8
	v_xor_b32_e32 v9, vcc_hi, v8
	v_xor_b32_e32 v8, vcc_lo, v8
	v_and_b32_e32 v0, v0, v9
	v_and_b32_e32 v64, v64, v8
	v_lshlrev_b32_e32 v9, 28, v63
	v_mov_b32_e32 v8, v1
	v_cmp_gt_i64_e32 vcc, 0, v[8:9]
	v_not_b32_e32 v8, v9
	v_ashrrev_i32_e32 v8, 31, v8
	;; [unrolled: 9-line block ×6, first 2 shown]
	v_xor_b32_e32 v9, vcc_hi, v8
	v_xor_b32_e32 v8, vcc_lo, v8
	ds_read_b32 v59, v61 offset:16
	v_and_b32_e32 v8, v64, v8
	v_and_b32_e32 v9, v0, v9
	v_mbcnt_lo_u32_b32 v0, v8, 0
	v_mbcnt_hi_u32_b32 v63, v9, v0
	v_cmp_eq_u32_e32 vcc, 0, v63
	v_cmp_ne_u64_e64 s[0:1], 0, v[8:9]
	s_and_b64 s[4:5], s[0:1], vcc
	; wave barrier
	s_and_saveexec_b64 s[0:1], s[4:5]
	s_cbranch_execz .LBB15_307
; %bb.306:
	v_bcnt_u32_b32 v0, v8, 0
	v_bcnt_u32_b32 v0, v9, v0
	s_waitcnt lgkmcnt(0)
	v_add_u32_e32 v0, v59, v0
	ds_write_b32 v61, v0 offset:16
.LBB15_307:
	s_or_b64 exec, exec, s[0:1]
	s_waitcnt vmcnt(10)
	v_xor_b32_e32 v62, 0x7fffffff, v62
	v_lshrrev_b32_e32 v0, s8, v62
	v_and_b32_e32 v67, s9, v0
	v_mul_lo_u32 v0, v67, 20
	v_lshl_add_u32 v66, v21, 2, v0
	v_and_b32_e32 v0, 1, v67
	v_lshl_add_u64 v[8:9], v[0:1], 0, -1
	v_cmp_ne_u32_e32 vcc, 0, v0
	; wave barrier
	s_nop 1
	v_xor_b32_e32 v8, vcc_lo, v8
	v_xor_b32_e32 v0, vcc_hi, v9
	v_and_b32_e32 v68, exec_lo, v8
	v_lshlrev_b32_e32 v9, 30, v67
	v_mov_b32_e32 v8, v1
	v_cmp_gt_i64_e32 vcc, 0, v[8:9]
	v_not_b32_e32 v8, v9
	v_ashrrev_i32_e32 v8, 31, v8
	v_and_b32_e32 v0, exec_hi, v0
	v_xor_b32_e32 v9, vcc_hi, v8
	v_xor_b32_e32 v8, vcc_lo, v8
	v_and_b32_e32 v0, v0, v9
	v_and_b32_e32 v68, v68, v8
	v_lshlrev_b32_e32 v9, 29, v67
	v_mov_b32_e32 v8, v1
	v_cmp_gt_i64_e32 vcc, 0, v[8:9]
	v_not_b32_e32 v8, v9
	v_ashrrev_i32_e32 v8, 31, v8
	v_xor_b32_e32 v9, vcc_hi, v8
	v_xor_b32_e32 v8, vcc_lo, v8
	v_and_b32_e32 v0, v0, v9
	v_and_b32_e32 v68, v68, v8
	v_lshlrev_b32_e32 v9, 28, v67
	v_mov_b32_e32 v8, v1
	v_cmp_gt_i64_e32 vcc, 0, v[8:9]
	v_not_b32_e32 v8, v9
	v_ashrrev_i32_e32 v8, 31, v8
	v_xor_b32_e32 v9, vcc_hi, v8
	v_xor_b32_e32 v8, vcc_lo, v8
	v_and_b32_e32 v0, v0, v9
	v_and_b32_e32 v68, v68, v8
	v_lshlrev_b32_e32 v9, 27, v67
	v_mov_b32_e32 v8, v1
	v_cmp_gt_i64_e32 vcc, 0, v[8:9]
	v_not_b32_e32 v8, v9
	v_ashrrev_i32_e32 v8, 31, v8
	v_xor_b32_e32 v9, vcc_hi, v8
	v_xor_b32_e32 v8, vcc_lo, v8
	v_and_b32_e32 v0, v0, v9
	v_and_b32_e32 v68, v68, v8
	v_lshlrev_b32_e32 v9, 26, v67
	v_mov_b32_e32 v8, v1
	v_cmp_gt_i64_e32 vcc, 0, v[8:9]
	v_not_b32_e32 v8, v9
	v_ashrrev_i32_e32 v8, 31, v8
	v_xor_b32_e32 v9, vcc_hi, v8
	v_xor_b32_e32 v8, vcc_lo, v8
	v_and_b32_e32 v0, v0, v9
	v_and_b32_e32 v68, v68, v8
	v_lshlrev_b32_e32 v9, 25, v67
	v_mov_b32_e32 v8, v1
	v_cmp_gt_i64_e32 vcc, 0, v[8:9]
	v_not_b32_e32 v8, v9
	v_ashrrev_i32_e32 v8, 31, v8
	v_xor_b32_e32 v9, vcc_hi, v8
	v_xor_b32_e32 v8, vcc_lo, v8
	v_and_b32_e32 v0, v0, v9
	v_lshlrev_b32_e32 v9, 24, v67
	v_and_b32_e32 v68, v68, v8
	v_mov_b32_e32 v8, v1
	v_not_b32_e32 v1, v9
	v_cmp_gt_i64_e32 vcc, 0, v[8:9]
	v_ashrrev_i32_e32 v1, 31, v1
	ds_read_b32 v64, v66 offset:16
	v_xor_b32_e32 v8, vcc_hi, v1
	v_xor_b32_e32 v9, vcc_lo, v1
	v_and_b32_e32 v1, v0, v8
	v_and_b32_e32 v0, v68, v9
	v_mbcnt_lo_u32_b32 v8, v0, 0
	v_mbcnt_hi_u32_b32 v67, v1, v8
	v_cmp_eq_u32_e32 vcc, 0, v67
	v_cmp_ne_u64_e64 s[0:1], 0, v[0:1]
	s_and_b64 s[4:5], s[0:1], vcc
	; wave barrier
	s_and_saveexec_b64 s[0:1], s[4:5]
	s_cbranch_execz .LBB15_309
; %bb.308:
	v_bcnt_u32_b32 v0, v0, 0
	v_bcnt_u32_b32 v0, v1, v0
	s_waitcnt lgkmcnt(0)
	v_add_u32_e32 v0, v64, v0
	ds_write_b32 v66, v0 offset:16
.LBB15_309:
	s_or_b64 exec, exec, s[0:1]
	s_waitcnt vmcnt(9)
	v_xor_b32_e32 v65, 0x7fffffff, v65
	v_lshrrev_b32_e32 v0, s8, v65
	v_and_b32_e32 v70, s9, v0
	v_mul_lo_u32 v0, v70, 20
	v_lshl_add_u32 v69, v21, 2, v0
	v_and_b32_e32 v0, 1, v70
	v_mov_b32_e32 v1, 0
	v_lshl_add_u64 v[8:9], v[0:1], 0, -1
	v_cmp_ne_u32_e32 vcc, 0, v0
	; wave barrier
	s_nop 1
	v_xor_b32_e32 v8, vcc_lo, v8
	v_xor_b32_e32 v0, vcc_hi, v9
	v_and_b32_e32 v71, exec_lo, v8
	v_lshlrev_b32_e32 v9, 30, v70
	v_mov_b32_e32 v8, v1
	v_cmp_gt_i64_e32 vcc, 0, v[8:9]
	v_not_b32_e32 v8, v9
	v_ashrrev_i32_e32 v8, 31, v8
	v_and_b32_e32 v0, exec_hi, v0
	v_xor_b32_e32 v9, vcc_hi, v8
	v_xor_b32_e32 v8, vcc_lo, v8
	v_and_b32_e32 v0, v0, v9
	v_and_b32_e32 v71, v71, v8
	v_lshlrev_b32_e32 v9, 29, v70
	v_mov_b32_e32 v8, v1
	v_cmp_gt_i64_e32 vcc, 0, v[8:9]
	v_not_b32_e32 v8, v9
	v_ashrrev_i32_e32 v8, 31, v8
	v_xor_b32_e32 v9, vcc_hi, v8
	v_xor_b32_e32 v8, vcc_lo, v8
	v_and_b32_e32 v0, v0, v9
	v_and_b32_e32 v71, v71, v8
	v_lshlrev_b32_e32 v9, 28, v70
	v_mov_b32_e32 v8, v1
	v_cmp_gt_i64_e32 vcc, 0, v[8:9]
	v_not_b32_e32 v8, v9
	v_ashrrev_i32_e32 v8, 31, v8
	v_xor_b32_e32 v9, vcc_hi, v8
	v_xor_b32_e32 v8, vcc_lo, v8
	v_and_b32_e32 v0, v0, v9
	v_and_b32_e32 v71, v71, v8
	v_lshlrev_b32_e32 v9, 27, v70
	v_mov_b32_e32 v8, v1
	v_cmp_gt_i64_e32 vcc, 0, v[8:9]
	v_not_b32_e32 v8, v9
	v_ashrrev_i32_e32 v8, 31, v8
	v_xor_b32_e32 v9, vcc_hi, v8
	v_xor_b32_e32 v8, vcc_lo, v8
	v_and_b32_e32 v0, v0, v9
	v_and_b32_e32 v71, v71, v8
	v_lshlrev_b32_e32 v9, 26, v70
	v_mov_b32_e32 v8, v1
	v_cmp_gt_i64_e32 vcc, 0, v[8:9]
	v_not_b32_e32 v8, v9
	v_ashrrev_i32_e32 v8, 31, v8
	v_xor_b32_e32 v9, vcc_hi, v8
	v_xor_b32_e32 v8, vcc_lo, v8
	v_and_b32_e32 v0, v0, v9
	v_and_b32_e32 v71, v71, v8
	v_lshlrev_b32_e32 v9, 25, v70
	v_mov_b32_e32 v8, v1
	v_cmp_gt_i64_e32 vcc, 0, v[8:9]
	v_not_b32_e32 v8, v9
	v_ashrrev_i32_e32 v8, 31, v8
	v_xor_b32_e32 v9, vcc_hi, v8
	v_xor_b32_e32 v8, vcc_lo, v8
	v_and_b32_e32 v0, v0, v9
	v_and_b32_e32 v71, v71, v8
	v_lshlrev_b32_e32 v9, 24, v70
	v_mov_b32_e32 v8, v1
	v_cmp_gt_i64_e32 vcc, 0, v[8:9]
	v_not_b32_e32 v8, v9
	v_ashrrev_i32_e32 v8, 31, v8
	v_xor_b32_e32 v9, vcc_hi, v8
	v_xor_b32_e32 v8, vcc_lo, v8
	ds_read_b32 v68, v69 offset:16
	v_and_b32_e32 v8, v71, v8
	v_and_b32_e32 v9, v0, v9
	v_mbcnt_lo_u32_b32 v0, v8, 0
	v_mbcnt_hi_u32_b32 v70, v9, v0
	v_cmp_eq_u32_e32 vcc, 0, v70
	v_cmp_ne_u64_e64 s[0:1], 0, v[8:9]
	s_and_b64 s[4:5], s[0:1], vcc
	; wave barrier
	s_and_saveexec_b64 s[0:1], s[4:5]
	s_cbranch_execz .LBB15_311
; %bb.310:
	v_bcnt_u32_b32 v0, v8, 0
	v_bcnt_u32_b32 v0, v9, v0
	s_waitcnt lgkmcnt(0)
	v_add_u32_e32 v0, v68, v0
	ds_write_b32 v69, v0 offset:16
.LBB15_311:
	s_or_b64 exec, exec, s[0:1]
	s_waitcnt vmcnt(8)
	v_xor_b32_e32 v60, 0x7fffffff, v60
	v_lshrrev_b32_e32 v0, s8, v60
	v_and_b32_e32 v73, s9, v0
	v_mul_lo_u32 v0, v73, 20
	v_lshl_add_u32 v72, v21, 2, v0
	v_and_b32_e32 v0, 1, v73
	v_lshl_add_u64 v[8:9], v[0:1], 0, -1
	v_cmp_ne_u32_e32 vcc, 0, v0
	; wave barrier
	s_nop 1
	v_xor_b32_e32 v8, vcc_lo, v8
	v_xor_b32_e32 v0, vcc_hi, v9
	v_and_b32_e32 v74, exec_lo, v8
	v_lshlrev_b32_e32 v9, 30, v73
	v_mov_b32_e32 v8, v1
	v_cmp_gt_i64_e32 vcc, 0, v[8:9]
	v_not_b32_e32 v8, v9
	v_ashrrev_i32_e32 v8, 31, v8
	v_and_b32_e32 v0, exec_hi, v0
	v_xor_b32_e32 v9, vcc_hi, v8
	v_xor_b32_e32 v8, vcc_lo, v8
	v_and_b32_e32 v0, v0, v9
	v_and_b32_e32 v74, v74, v8
	v_lshlrev_b32_e32 v9, 29, v73
	v_mov_b32_e32 v8, v1
	v_cmp_gt_i64_e32 vcc, 0, v[8:9]
	v_not_b32_e32 v8, v9
	v_ashrrev_i32_e32 v8, 31, v8
	v_xor_b32_e32 v9, vcc_hi, v8
	v_xor_b32_e32 v8, vcc_lo, v8
	v_and_b32_e32 v0, v0, v9
	v_and_b32_e32 v74, v74, v8
	v_lshlrev_b32_e32 v9, 28, v73
	v_mov_b32_e32 v8, v1
	v_cmp_gt_i64_e32 vcc, 0, v[8:9]
	v_not_b32_e32 v8, v9
	v_ashrrev_i32_e32 v8, 31, v8
	;; [unrolled: 9-line block ×5, first 2 shown]
	v_xor_b32_e32 v9, vcc_hi, v8
	v_xor_b32_e32 v8, vcc_lo, v8
	v_and_b32_e32 v0, v0, v9
	v_lshlrev_b32_e32 v9, 24, v73
	v_and_b32_e32 v74, v74, v8
	v_mov_b32_e32 v8, v1
	v_not_b32_e32 v1, v9
	v_cmp_gt_i64_e32 vcc, 0, v[8:9]
	v_ashrrev_i32_e32 v1, 31, v1
	ds_read_b32 v71, v72 offset:16
	v_xor_b32_e32 v8, vcc_hi, v1
	v_xor_b32_e32 v9, vcc_lo, v1
	v_and_b32_e32 v1, v0, v8
	v_and_b32_e32 v0, v74, v9
	v_mbcnt_lo_u32_b32 v8, v0, 0
	v_mbcnt_hi_u32_b32 v73, v1, v8
	v_cmp_eq_u32_e32 vcc, 0, v73
	v_cmp_ne_u64_e64 s[0:1], 0, v[0:1]
	s_and_b64 s[4:5], s[0:1], vcc
	; wave barrier
	s_and_saveexec_b64 s[0:1], s[4:5]
	s_cbranch_execz .LBB15_313
; %bb.312:
	v_bcnt_u32_b32 v0, v0, 0
	v_bcnt_u32_b32 v0, v1, v0
	s_waitcnt lgkmcnt(0)
	v_add_u32_e32 v0, v71, v0
	ds_write_b32 v72, v0 offset:16
.LBB15_313:
	s_or_b64 exec, exec, s[0:1]
	s_waitcnt vmcnt(7)
	v_xor_b32_e32 v55, 0x7fffffff, v55
	v_lshrrev_b32_e32 v0, s8, v55
	v_and_b32_e32 v76, s9, v0
	v_mul_lo_u32 v0, v76, 20
	v_lshl_add_u32 v75, v21, 2, v0
	v_and_b32_e32 v0, 1, v76
	v_mov_b32_e32 v1, 0
	v_lshl_add_u64 v[8:9], v[0:1], 0, -1
	v_cmp_ne_u32_e32 vcc, 0, v0
	; wave barrier
	s_nop 1
	v_xor_b32_e32 v8, vcc_lo, v8
	v_xor_b32_e32 v0, vcc_hi, v9
	v_and_b32_e32 v77, exec_lo, v8
	v_lshlrev_b32_e32 v9, 30, v76
	v_mov_b32_e32 v8, v1
	v_cmp_gt_i64_e32 vcc, 0, v[8:9]
	v_not_b32_e32 v8, v9
	v_ashrrev_i32_e32 v8, 31, v8
	v_and_b32_e32 v0, exec_hi, v0
	v_xor_b32_e32 v9, vcc_hi, v8
	v_xor_b32_e32 v8, vcc_lo, v8
	v_and_b32_e32 v0, v0, v9
	v_and_b32_e32 v77, v77, v8
	v_lshlrev_b32_e32 v9, 29, v76
	v_mov_b32_e32 v8, v1
	v_cmp_gt_i64_e32 vcc, 0, v[8:9]
	v_not_b32_e32 v8, v9
	v_ashrrev_i32_e32 v8, 31, v8
	v_xor_b32_e32 v9, vcc_hi, v8
	v_xor_b32_e32 v8, vcc_lo, v8
	v_and_b32_e32 v0, v0, v9
	v_and_b32_e32 v77, v77, v8
	v_lshlrev_b32_e32 v9, 28, v76
	v_mov_b32_e32 v8, v1
	v_cmp_gt_i64_e32 vcc, 0, v[8:9]
	v_not_b32_e32 v8, v9
	v_ashrrev_i32_e32 v8, 31, v8
	;; [unrolled: 9-line block ×6, first 2 shown]
	v_xor_b32_e32 v9, vcc_hi, v8
	v_xor_b32_e32 v8, vcc_lo, v8
	ds_read_b32 v74, v75 offset:16
	v_and_b32_e32 v8, v77, v8
	v_and_b32_e32 v9, v0, v9
	v_mbcnt_lo_u32_b32 v0, v8, 0
	v_mbcnt_hi_u32_b32 v76, v9, v0
	v_cmp_eq_u32_e32 vcc, 0, v76
	v_cmp_ne_u64_e64 s[0:1], 0, v[8:9]
	s_and_b64 s[4:5], s[0:1], vcc
	; wave barrier
	s_and_saveexec_b64 s[0:1], s[4:5]
	s_cbranch_execz .LBB15_315
; %bb.314:
	v_bcnt_u32_b32 v0, v8, 0
	v_bcnt_u32_b32 v0, v9, v0
	s_waitcnt lgkmcnt(0)
	v_add_u32_e32 v0, v74, v0
	ds_write_b32 v75, v0 offset:16
.LBB15_315:
	s_or_b64 exec, exec, s[0:1]
	s_waitcnt vmcnt(6)
	v_xor_b32_e32 v50, 0x7fffffff, v50
	v_lshrrev_b32_e32 v0, s8, v50
	v_and_b32_e32 v79, s9, v0
	v_mul_lo_u32 v0, v79, 20
	v_lshl_add_u32 v78, v21, 2, v0
	v_and_b32_e32 v0, 1, v79
	v_lshl_add_u64 v[8:9], v[0:1], 0, -1
	v_cmp_ne_u32_e32 vcc, 0, v0
	; wave barrier
	s_nop 1
	v_xor_b32_e32 v8, vcc_lo, v8
	v_xor_b32_e32 v0, vcc_hi, v9
	v_and_b32_e32 v80, exec_lo, v8
	v_lshlrev_b32_e32 v9, 30, v79
	v_mov_b32_e32 v8, v1
	v_cmp_gt_i64_e32 vcc, 0, v[8:9]
	v_not_b32_e32 v8, v9
	v_ashrrev_i32_e32 v8, 31, v8
	v_and_b32_e32 v0, exec_hi, v0
	v_xor_b32_e32 v9, vcc_hi, v8
	v_xor_b32_e32 v8, vcc_lo, v8
	v_and_b32_e32 v0, v0, v9
	v_and_b32_e32 v80, v80, v8
	v_lshlrev_b32_e32 v9, 29, v79
	v_mov_b32_e32 v8, v1
	v_cmp_gt_i64_e32 vcc, 0, v[8:9]
	v_not_b32_e32 v8, v9
	v_ashrrev_i32_e32 v8, 31, v8
	v_xor_b32_e32 v9, vcc_hi, v8
	v_xor_b32_e32 v8, vcc_lo, v8
	v_and_b32_e32 v0, v0, v9
	v_and_b32_e32 v80, v80, v8
	v_lshlrev_b32_e32 v9, 28, v79
	v_mov_b32_e32 v8, v1
	v_cmp_gt_i64_e32 vcc, 0, v[8:9]
	v_not_b32_e32 v8, v9
	v_ashrrev_i32_e32 v8, 31, v8
	;; [unrolled: 9-line block ×5, first 2 shown]
	v_xor_b32_e32 v9, vcc_hi, v8
	v_xor_b32_e32 v8, vcc_lo, v8
	v_and_b32_e32 v0, v0, v9
	v_lshlrev_b32_e32 v9, 24, v79
	v_and_b32_e32 v80, v80, v8
	v_mov_b32_e32 v8, v1
	v_not_b32_e32 v1, v9
	v_cmp_gt_i64_e32 vcc, 0, v[8:9]
	v_ashrrev_i32_e32 v1, 31, v1
	ds_read_b32 v77, v78 offset:16
	v_xor_b32_e32 v8, vcc_hi, v1
	v_xor_b32_e32 v9, vcc_lo, v1
	v_and_b32_e32 v1, v0, v8
	v_and_b32_e32 v0, v80, v9
	v_mbcnt_lo_u32_b32 v8, v0, 0
	v_mbcnt_hi_u32_b32 v79, v1, v8
	v_cmp_eq_u32_e32 vcc, 0, v79
	v_cmp_ne_u64_e64 s[0:1], 0, v[0:1]
	s_and_b64 s[4:5], s[0:1], vcc
	; wave barrier
	s_and_saveexec_b64 s[0:1], s[4:5]
	s_cbranch_execz .LBB15_317
; %bb.316:
	v_bcnt_u32_b32 v0, v0, 0
	v_bcnt_u32_b32 v0, v1, v0
	s_waitcnt lgkmcnt(0)
	v_add_u32_e32 v0, v77, v0
	ds_write_b32 v78, v0 offset:16
.LBB15_317:
	s_or_b64 exec, exec, s[0:1]
	s_waitcnt vmcnt(5)
	v_xor_b32_e32 v45, 0x7fffffff, v45
	v_lshrrev_b32_e32 v0, s8, v45
	v_and_b32_e32 v82, s9, v0
	v_mul_lo_u32 v0, v82, 20
	v_lshl_add_u32 v81, v21, 2, v0
	v_and_b32_e32 v0, 1, v82
	v_mov_b32_e32 v1, 0
	v_lshl_add_u64 v[8:9], v[0:1], 0, -1
	v_cmp_ne_u32_e32 vcc, 0, v0
	; wave barrier
	s_nop 1
	v_xor_b32_e32 v8, vcc_lo, v8
	v_xor_b32_e32 v0, vcc_hi, v9
	v_and_b32_e32 v83, exec_lo, v8
	v_lshlrev_b32_e32 v9, 30, v82
	v_mov_b32_e32 v8, v1
	v_cmp_gt_i64_e32 vcc, 0, v[8:9]
	v_not_b32_e32 v8, v9
	v_ashrrev_i32_e32 v8, 31, v8
	v_and_b32_e32 v0, exec_hi, v0
	v_xor_b32_e32 v9, vcc_hi, v8
	v_xor_b32_e32 v8, vcc_lo, v8
	v_and_b32_e32 v0, v0, v9
	v_and_b32_e32 v83, v83, v8
	v_lshlrev_b32_e32 v9, 29, v82
	v_mov_b32_e32 v8, v1
	v_cmp_gt_i64_e32 vcc, 0, v[8:9]
	v_not_b32_e32 v8, v9
	v_ashrrev_i32_e32 v8, 31, v8
	v_xor_b32_e32 v9, vcc_hi, v8
	v_xor_b32_e32 v8, vcc_lo, v8
	v_and_b32_e32 v0, v0, v9
	v_and_b32_e32 v83, v83, v8
	v_lshlrev_b32_e32 v9, 28, v82
	v_mov_b32_e32 v8, v1
	v_cmp_gt_i64_e32 vcc, 0, v[8:9]
	v_not_b32_e32 v8, v9
	v_ashrrev_i32_e32 v8, 31, v8
	;; [unrolled: 9-line block ×6, first 2 shown]
	v_xor_b32_e32 v9, vcc_hi, v8
	v_xor_b32_e32 v8, vcc_lo, v8
	ds_read_b32 v80, v81 offset:16
	v_and_b32_e32 v8, v83, v8
	v_and_b32_e32 v9, v0, v9
	v_mbcnt_lo_u32_b32 v0, v8, 0
	v_mbcnt_hi_u32_b32 v82, v9, v0
	v_cmp_eq_u32_e32 vcc, 0, v82
	v_cmp_ne_u64_e64 s[0:1], 0, v[8:9]
	s_and_b64 s[4:5], s[0:1], vcc
	; wave barrier
	s_and_saveexec_b64 s[0:1], s[4:5]
	s_cbranch_execz .LBB15_319
; %bb.318:
	v_bcnt_u32_b32 v0, v8, 0
	v_bcnt_u32_b32 v0, v9, v0
	s_waitcnt lgkmcnt(0)
	v_add_u32_e32 v0, v80, v0
	ds_write_b32 v81, v0 offset:16
.LBB15_319:
	s_or_b64 exec, exec, s[0:1]
	s_waitcnt vmcnt(4)
	v_xor_b32_e32 v41, 0x7fffffff, v41
	v_lshrrev_b32_e32 v0, s8, v41
	v_and_b32_e32 v85, s9, v0
	v_mul_lo_u32 v0, v85, 20
	v_lshl_add_u32 v84, v21, 2, v0
	v_and_b32_e32 v0, 1, v85
	v_lshl_add_u64 v[8:9], v[0:1], 0, -1
	v_cmp_ne_u32_e32 vcc, 0, v0
	; wave barrier
	s_nop 1
	v_xor_b32_e32 v8, vcc_lo, v8
	v_xor_b32_e32 v0, vcc_hi, v9
	v_and_b32_e32 v86, exec_lo, v8
	v_lshlrev_b32_e32 v9, 30, v85
	v_mov_b32_e32 v8, v1
	v_cmp_gt_i64_e32 vcc, 0, v[8:9]
	v_not_b32_e32 v8, v9
	v_ashrrev_i32_e32 v8, 31, v8
	v_and_b32_e32 v0, exec_hi, v0
	v_xor_b32_e32 v9, vcc_hi, v8
	v_xor_b32_e32 v8, vcc_lo, v8
	v_and_b32_e32 v0, v0, v9
	v_and_b32_e32 v86, v86, v8
	v_lshlrev_b32_e32 v9, 29, v85
	v_mov_b32_e32 v8, v1
	v_cmp_gt_i64_e32 vcc, 0, v[8:9]
	v_not_b32_e32 v8, v9
	v_ashrrev_i32_e32 v8, 31, v8
	v_xor_b32_e32 v9, vcc_hi, v8
	v_xor_b32_e32 v8, vcc_lo, v8
	v_and_b32_e32 v0, v0, v9
	v_and_b32_e32 v86, v86, v8
	v_lshlrev_b32_e32 v9, 28, v85
	v_mov_b32_e32 v8, v1
	v_cmp_gt_i64_e32 vcc, 0, v[8:9]
	v_not_b32_e32 v8, v9
	v_ashrrev_i32_e32 v8, 31, v8
	;; [unrolled: 9-line block ×5, first 2 shown]
	v_xor_b32_e32 v9, vcc_hi, v8
	v_xor_b32_e32 v8, vcc_lo, v8
	v_and_b32_e32 v0, v0, v9
	v_lshlrev_b32_e32 v9, 24, v85
	v_and_b32_e32 v86, v86, v8
	v_mov_b32_e32 v8, v1
	v_not_b32_e32 v1, v9
	v_cmp_gt_i64_e32 vcc, 0, v[8:9]
	v_ashrrev_i32_e32 v1, 31, v1
	ds_read_b32 v83, v84 offset:16
	v_xor_b32_e32 v8, vcc_hi, v1
	v_xor_b32_e32 v9, vcc_lo, v1
	v_and_b32_e32 v1, v0, v8
	v_and_b32_e32 v0, v86, v9
	v_mbcnt_lo_u32_b32 v8, v0, 0
	v_mbcnt_hi_u32_b32 v85, v1, v8
	v_cmp_eq_u32_e32 vcc, 0, v85
	v_cmp_ne_u64_e64 s[0:1], 0, v[0:1]
	s_and_b64 s[4:5], s[0:1], vcc
	; wave barrier
	s_and_saveexec_b64 s[0:1], s[4:5]
	s_cbranch_execz .LBB15_321
; %bb.320:
	v_bcnt_u32_b32 v0, v0, 0
	v_bcnt_u32_b32 v0, v1, v0
	s_waitcnt lgkmcnt(0)
	v_add_u32_e32 v0, v83, v0
	ds_write_b32 v84, v0 offset:16
.LBB15_321:
	s_or_b64 exec, exec, s[0:1]
	s_waitcnt vmcnt(3)
	v_xor_b32_e32 v36, 0x7fffffff, v36
	v_lshrrev_b32_e32 v0, s8, v36
	v_and_b32_e32 v88, s9, v0
	v_mul_lo_u32 v0, v88, 20
	v_lshl_add_u32 v87, v21, 2, v0
	v_and_b32_e32 v0, 1, v88
	v_mov_b32_e32 v1, 0
	v_lshl_add_u64 v[8:9], v[0:1], 0, -1
	v_cmp_ne_u32_e32 vcc, 0, v0
	; wave barrier
	s_nop 1
	v_xor_b32_e32 v8, vcc_lo, v8
	v_xor_b32_e32 v0, vcc_hi, v9
	v_and_b32_e32 v89, exec_lo, v8
	v_lshlrev_b32_e32 v9, 30, v88
	v_mov_b32_e32 v8, v1
	v_cmp_gt_i64_e32 vcc, 0, v[8:9]
	v_not_b32_e32 v8, v9
	v_ashrrev_i32_e32 v8, 31, v8
	v_and_b32_e32 v0, exec_hi, v0
	v_xor_b32_e32 v9, vcc_hi, v8
	v_xor_b32_e32 v8, vcc_lo, v8
	v_and_b32_e32 v0, v0, v9
	v_and_b32_e32 v89, v89, v8
	v_lshlrev_b32_e32 v9, 29, v88
	v_mov_b32_e32 v8, v1
	v_cmp_gt_i64_e32 vcc, 0, v[8:9]
	v_not_b32_e32 v8, v9
	v_ashrrev_i32_e32 v8, 31, v8
	v_xor_b32_e32 v9, vcc_hi, v8
	v_xor_b32_e32 v8, vcc_lo, v8
	v_and_b32_e32 v0, v0, v9
	v_and_b32_e32 v89, v89, v8
	v_lshlrev_b32_e32 v9, 28, v88
	v_mov_b32_e32 v8, v1
	v_cmp_gt_i64_e32 vcc, 0, v[8:9]
	v_not_b32_e32 v8, v9
	v_ashrrev_i32_e32 v8, 31, v8
	;; [unrolled: 9-line block ×6, first 2 shown]
	v_xor_b32_e32 v9, vcc_hi, v8
	v_xor_b32_e32 v8, vcc_lo, v8
	ds_read_b32 v86, v87 offset:16
	v_and_b32_e32 v8, v89, v8
	v_and_b32_e32 v9, v0, v9
	v_mbcnt_lo_u32_b32 v0, v8, 0
	v_mbcnt_hi_u32_b32 v89, v9, v0
	v_cmp_eq_u32_e32 vcc, 0, v89
	v_cmp_ne_u64_e64 s[0:1], 0, v[8:9]
	s_and_b64 s[4:5], s[0:1], vcc
	; wave barrier
	s_and_saveexec_b64 s[0:1], s[4:5]
	s_cbranch_execz .LBB15_323
; %bb.322:
	v_bcnt_u32_b32 v0, v8, 0
	v_bcnt_u32_b32 v0, v9, v0
	s_waitcnt lgkmcnt(0)
	v_add_u32_e32 v0, v86, v0
	ds_write_b32 v87, v0 offset:16
.LBB15_323:
	s_or_b64 exec, exec, s[0:1]
	s_waitcnt vmcnt(2)
	v_xor_b32_e32 v88, 0x7fffffff, v31
	v_lshrrev_b32_e32 v0, s8, v88
	v_and_b32_e32 v91, s9, v0
	v_mul_lo_u32 v0, v91, 20
	v_lshl_add_u32 v31, v21, 2, v0
	v_and_b32_e32 v0, 1, v91
	v_lshl_add_u64 v[8:9], v[0:1], 0, -1
	v_cmp_ne_u32_e32 vcc, 0, v0
	; wave barrier
	s_nop 1
	v_xor_b32_e32 v8, vcc_lo, v8
	v_xor_b32_e32 v0, vcc_hi, v9
	v_and_b32_e32 v92, exec_lo, v8
	v_lshlrev_b32_e32 v9, 30, v91
	v_mov_b32_e32 v8, v1
	v_cmp_gt_i64_e32 vcc, 0, v[8:9]
	v_not_b32_e32 v8, v9
	v_ashrrev_i32_e32 v8, 31, v8
	v_and_b32_e32 v0, exec_hi, v0
	v_xor_b32_e32 v9, vcc_hi, v8
	v_xor_b32_e32 v8, vcc_lo, v8
	v_and_b32_e32 v0, v0, v9
	v_and_b32_e32 v92, v92, v8
	v_lshlrev_b32_e32 v9, 29, v91
	v_mov_b32_e32 v8, v1
	v_cmp_gt_i64_e32 vcc, 0, v[8:9]
	v_not_b32_e32 v8, v9
	v_ashrrev_i32_e32 v8, 31, v8
	v_xor_b32_e32 v9, vcc_hi, v8
	v_xor_b32_e32 v8, vcc_lo, v8
	v_and_b32_e32 v0, v0, v9
	v_and_b32_e32 v92, v92, v8
	v_lshlrev_b32_e32 v9, 28, v91
	v_mov_b32_e32 v8, v1
	v_cmp_gt_i64_e32 vcc, 0, v[8:9]
	v_not_b32_e32 v8, v9
	v_ashrrev_i32_e32 v8, 31, v8
	;; [unrolled: 9-line block ×5, first 2 shown]
	v_xor_b32_e32 v9, vcc_hi, v8
	v_xor_b32_e32 v8, vcc_lo, v8
	v_and_b32_e32 v0, v0, v9
	v_lshlrev_b32_e32 v9, 24, v91
	v_and_b32_e32 v92, v92, v8
	v_mov_b32_e32 v8, v1
	v_not_b32_e32 v1, v9
	v_cmp_gt_i64_e32 vcc, 0, v[8:9]
	v_ashrrev_i32_e32 v1, 31, v1
	ds_read_b32 v90, v31 offset:16
	v_xor_b32_e32 v8, vcc_hi, v1
	v_xor_b32_e32 v9, vcc_lo, v1
	v_and_b32_e32 v1, v0, v8
	v_and_b32_e32 v0, v92, v9
	v_mbcnt_lo_u32_b32 v8, v0, 0
	v_mbcnt_hi_u32_b32 v92, v1, v8
	v_cmp_eq_u32_e32 vcc, 0, v92
	v_cmp_ne_u64_e64 s[0:1], 0, v[0:1]
	s_and_b64 s[4:5], s[0:1], vcc
	; wave barrier
	s_and_saveexec_b64 s[0:1], s[4:5]
	s_cbranch_execz .LBB15_325
; %bb.324:
	v_bcnt_u32_b32 v0, v0, 0
	v_bcnt_u32_b32 v0, v1, v0
	s_waitcnt lgkmcnt(0)
	v_add_u32_e32 v0, v90, v0
	ds_write_b32 v31, v0 offset:16
.LBB15_325:
	s_or_b64 exec, exec, s[0:1]
	s_waitcnt vmcnt(1)
	v_xor_b32_e32 v91, 0x7fffffff, v26
	v_lshrrev_b32_e32 v0, s8, v91
	v_and_b32_e32 v94, s9, v0
	v_mul_lo_u32 v0, v94, 20
	v_lshl_add_u32 v26, v21, 2, v0
	v_and_b32_e32 v0, 1, v94
	v_mov_b32_e32 v1, 0
	v_lshl_add_u64 v[8:9], v[0:1], 0, -1
	v_cmp_ne_u32_e32 vcc, 0, v0
	; wave barrier
	s_nop 1
	v_xor_b32_e32 v8, vcc_lo, v8
	v_xor_b32_e32 v0, vcc_hi, v9
	v_and_b32_e32 v95, exec_lo, v8
	v_lshlrev_b32_e32 v9, 30, v94
	v_mov_b32_e32 v8, v1
	v_cmp_gt_i64_e32 vcc, 0, v[8:9]
	v_not_b32_e32 v8, v9
	v_ashrrev_i32_e32 v8, 31, v8
	v_and_b32_e32 v0, exec_hi, v0
	v_xor_b32_e32 v9, vcc_hi, v8
	v_xor_b32_e32 v8, vcc_lo, v8
	v_and_b32_e32 v0, v0, v9
	v_and_b32_e32 v95, v95, v8
	v_lshlrev_b32_e32 v9, 29, v94
	v_mov_b32_e32 v8, v1
	v_cmp_gt_i64_e32 vcc, 0, v[8:9]
	v_not_b32_e32 v8, v9
	v_ashrrev_i32_e32 v8, 31, v8
	v_xor_b32_e32 v9, vcc_hi, v8
	v_xor_b32_e32 v8, vcc_lo, v8
	v_and_b32_e32 v0, v0, v9
	v_and_b32_e32 v95, v95, v8
	v_lshlrev_b32_e32 v9, 28, v94
	v_mov_b32_e32 v8, v1
	v_cmp_gt_i64_e32 vcc, 0, v[8:9]
	v_not_b32_e32 v8, v9
	v_ashrrev_i32_e32 v8, 31, v8
	;; [unrolled: 9-line block ×6, first 2 shown]
	v_xor_b32_e32 v9, vcc_hi, v8
	v_xor_b32_e32 v8, vcc_lo, v8
	ds_read_b32 v93, v26 offset:16
	v_and_b32_e32 v8, v95, v8
	v_and_b32_e32 v9, v0, v9
	v_mbcnt_lo_u32_b32 v0, v8, 0
	v_mbcnt_hi_u32_b32 v95, v9, v0
	v_cmp_eq_u32_e32 vcc, 0, v95
	v_cmp_ne_u64_e64 s[0:1], 0, v[8:9]
	s_and_b64 s[4:5], s[0:1], vcc
	; wave barrier
	s_and_saveexec_b64 s[0:1], s[4:5]
	s_cbranch_execz .LBB15_327
; %bb.326:
	v_bcnt_u32_b32 v0, v8, 0
	v_bcnt_u32_b32 v0, v9, v0
	s_waitcnt lgkmcnt(0)
	v_add_u32_e32 v0, v93, v0
	ds_write_b32 v26, v0 offset:16
.LBB15_327:
	s_or_b64 exec, exec, s[0:1]
	s_waitcnt vmcnt(0)
	v_xor_b32_e32 v94, 0x7fffffff, v10
	v_lshrrev_b32_e32 v0, s8, v94
	v_and_b32_e32 v10, s9, v0
	v_mul_lo_u32 v0, v10, 20
	v_lshl_add_u32 v96, v21, 2, v0
	v_and_b32_e32 v0, 1, v10
	v_lshl_add_u64 v[8:9], v[0:1], 0, -1
	v_cmp_ne_u32_e32 vcc, 0, v0
	; wave barrier
	s_nop 1
	v_xor_b32_e32 v8, vcc_lo, v8
	v_xor_b32_e32 v0, vcc_hi, v9
	v_and_b32_e32 v97, exec_lo, v8
	v_lshlrev_b32_e32 v9, 30, v10
	v_mov_b32_e32 v8, v1
	v_cmp_gt_i64_e32 vcc, 0, v[8:9]
	v_not_b32_e32 v8, v9
	v_ashrrev_i32_e32 v8, 31, v8
	v_and_b32_e32 v0, exec_hi, v0
	v_xor_b32_e32 v9, vcc_hi, v8
	v_xor_b32_e32 v8, vcc_lo, v8
	v_and_b32_e32 v0, v0, v9
	v_and_b32_e32 v97, v97, v8
	v_lshlrev_b32_e32 v9, 29, v10
	v_mov_b32_e32 v8, v1
	v_cmp_gt_i64_e32 vcc, 0, v[8:9]
	v_not_b32_e32 v8, v9
	v_ashrrev_i32_e32 v8, 31, v8
	v_xor_b32_e32 v9, vcc_hi, v8
	v_xor_b32_e32 v8, vcc_lo, v8
	v_and_b32_e32 v0, v0, v9
	v_and_b32_e32 v97, v97, v8
	v_lshlrev_b32_e32 v9, 28, v10
	v_mov_b32_e32 v8, v1
	v_cmp_gt_i64_e32 vcc, 0, v[8:9]
	v_not_b32_e32 v8, v9
	v_ashrrev_i32_e32 v8, 31, v8
	;; [unrolled: 9-line block ×5, first 2 shown]
	v_xor_b32_e32 v9, vcc_hi, v8
	v_xor_b32_e32 v8, vcc_lo, v8
	v_and_b32_e32 v0, v0, v9
	v_lshlrev_b32_e32 v9, 24, v10
	v_and_b32_e32 v97, v97, v8
	v_mov_b32_e32 v8, v1
	v_not_b32_e32 v1, v9
	v_cmp_gt_i64_e32 vcc, 0, v[8:9]
	v_ashrrev_i32_e32 v1, 31, v1
	ds_read_b32 v21, v96 offset:16
	v_xor_b32_e32 v8, vcc_hi, v1
	v_xor_b32_e32 v9, vcc_lo, v1
	v_and_b32_e32 v1, v0, v8
	v_and_b32_e32 v0, v97, v9
	v_mbcnt_lo_u32_b32 v8, v0, 0
	v_mbcnt_hi_u32_b32 v97, v1, v8
	v_cmp_eq_u32_e32 vcc, 0, v97
	v_cmp_ne_u64_e64 s[0:1], 0, v[0:1]
	s_and_b64 s[4:5], s[0:1], vcc
	; wave barrier
	s_and_saveexec_b64 s[0:1], s[4:5]
	s_cbranch_execz .LBB15_329
; %bb.328:
	v_bcnt_u32_b32 v0, v0, 0
	v_bcnt_u32_b32 v0, v1, v0
	s_waitcnt lgkmcnt(0)
	v_add_u32_e32 v0, v21, v0
	ds_write_b32 v96, v0 offset:16
.LBB15_329:
	s_or_b64 exec, exec, s[0:1]
	; wave barrier
	s_waitcnt lgkmcnt(0)
	s_barrier
	ds_read2_b32 v[8:9], v3 offset0:4 offset1:5
	ds_read2_b32 v[0:1], v3 offset0:6 offset1:7
	ds_read_b32 v10, v3 offset:32
	v_min_u32_e32 v7, 0xc0, v7
	v_or_b32_e32 v7, 63, v7
	s_waitcnt lgkmcnt(1)
	v_add3_u32 v98, v9, v8, v0
	s_waitcnt lgkmcnt(0)
	v_add3_u32 v10, v98, v1, v10
	v_and_b32_e32 v98, 15, v4
	v_cmp_ne_u32_e32 vcc, 0, v98
	v_mov_b32_dpp v99, v10 row_shr:1 row_mask:0xf bank_mask:0xf
	s_nop 0
	v_cndmask_b32_e32 v99, 0, v99, vcc
	v_add_u32_e32 v10, v99, v10
	v_cmp_lt_u32_e32 vcc, 1, v98
	s_nop 0
	v_mov_b32_dpp v99, v10 row_shr:2 row_mask:0xf bank_mask:0xf
	v_cndmask_b32_e32 v99, 0, v99, vcc
	v_add_u32_e32 v10, v10, v99
	v_cmp_lt_u32_e32 vcc, 3, v98
	s_nop 0
	v_mov_b32_dpp v99, v10 row_shr:4 row_mask:0xf bank_mask:0xf
	v_cndmask_b32_e32 v99, 0, v99, vcc
	v_add_u32_e32 v10, v10, v99
	v_cmp_lt_u32_e32 vcc, 7, v98
	s_nop 0
	v_mov_b32_dpp v99, v10 row_shr:8 row_mask:0xf bank_mask:0xf
	v_cndmask_b32_e32 v98, 0, v99, vcc
	v_add_u32_e32 v10, v10, v98
	v_bfe_i32 v99, v4, 4, 1
	v_cmp_lt_u32_e32 vcc, 31, v4
	v_mov_b32_dpp v98, v10 row_bcast:15 row_mask:0xf bank_mask:0xf
	v_and_b32_e32 v98, v99, v98
	v_add_u32_e32 v10, v10, v98
	v_lshrrev_b32_e32 v99, 6, v2
	s_nop 0
	v_mov_b32_dpp v98, v10 row_bcast:31 row_mask:0xf bank_mask:0xf
	v_cndmask_b32_e32 v98, 0, v98, vcc
	v_add_u32_e32 v98, v10, v98
	v_cmp_eq_u32_e32 vcc, v2, v7
	s_and_saveexec_b64 s[0:1], vcc
; %bb.330:
	v_lshlrev_b32_e32 v7, 2, v99
	ds_write_b32 v7, v98
; %bb.331:
	s_or_b64 exec, exec, s[0:1]
	v_cmp_gt_u32_e32 vcc, 4, v2
	v_lshlrev_b32_e32 v10, 2, v2
	s_waitcnt lgkmcnt(0)
	s_barrier
	s_and_saveexec_b64 s[0:1], vcc
	s_cbranch_execz .LBB15_333
; %bb.332:
	ds_read_b32 v7, v10
	v_and_b32_e32 v100, 3, v4
	v_cmp_ne_u32_e32 vcc, 0, v100
	s_waitcnt lgkmcnt(0)
	v_mov_b32_dpp v101, v7 row_shr:1 row_mask:0xf bank_mask:0xf
	v_cndmask_b32_e32 v101, 0, v101, vcc
	v_add_u32_e32 v7, v101, v7
	v_cmp_lt_u32_e32 vcc, 1, v100
	s_nop 0
	v_mov_b32_dpp v101, v7 row_shr:2 row_mask:0xf bank_mask:0xf
	v_cndmask_b32_e32 v100, 0, v101, vcc
	v_add_u32_e32 v7, v7, v100
	ds_write_b32 v10, v7
.LBB15_333:
	s_or_b64 exec, exec, s[0:1]
	v_cmp_lt_u32_e32 vcc, 63, v2
	v_mov_b32_e32 v7, 0
	s_waitcnt lgkmcnt(0)
	s_barrier
	s_and_saveexec_b64 s[0:1], vcc
; %bb.334:
	v_lshl_add_u32 v7, v99, 2, -4
	ds_read_b32 v7, v7
; %bb.335:
	s_or_b64 exec, exec, s[0:1]
	v_add_u32_e32 v99, -1, v4
	v_and_b32_e32 v100, 64, v4
	v_cmp_lt_i32_e32 vcc, v99, v100
	s_waitcnt lgkmcnt(0)
	v_add_u32_e32 v98, v7, v98
	s_movk_i32 s0, 0x100
	v_cndmask_b32_e32 v99, v99, v4, vcc
	v_lshlrev_b32_e32 v99, 2, v99
	ds_bpermute_b32 v98, v99, v98
	v_cmp_eq_u32_e32 vcc, 0, v4
	s_waitcnt lgkmcnt(0)
	s_nop 0
	v_cndmask_b32_e32 v7, v98, v7, vcc
	v_cmp_ne_u32_e32 vcc, 0, v2
	s_nop 1
	v_cndmask_b32_e32 v7, 0, v7, vcc
	v_add_u32_e32 v8, v7, v8
	v_add_u32_e32 v9, v8, v9
	v_add_u32_e32 v0, v9, v0
	v_add_u32_e32 v1, v0, v1
	ds_write2_b32 v3, v7, v8 offset0:4 offset1:5
	ds_write2_b32 v3, v9, v0 offset0:6 offset1:7
	ds_write_b32 v3, v1 offset:32
	s_waitcnt lgkmcnt(0)
	s_barrier
	ds_read_b32 v8, v46 offset:16
	ds_read_b32 v9, v51 offset:16
	ds_read_b32 v46, v56 offset:16
	ds_read_b32 v51, v61 offset:16
	ds_read_b32 v56, v66 offset:16
	ds_read_b32 v61, v69 offset:16
	ds_read_b32 v66, v72 offset:16
	ds_read_b32 v69, v75 offset:16
	ds_read_b32 v72, v78 offset:16
	ds_read_b32 v75, v81 offset:16
	ds_read_b32 v78, v84 offset:16
	ds_read_b32 v81, v87 offset:16
	ds_read_b32 v84, v31 offset:16
	ds_read_b32 v87, v26 offset:16
	ds_read_b32 v96, v96 offset:16
	ds_read_b32 v12, v12 offset:16
	ds_read_b32 v16, v16 offset:16
	ds_read_b32 v20, v20 offset:16
	ds_read_b32 v31, v25 offset:16
	ds_read_b32 v30, v30 offset:16
	ds_read_b32 v35, v35 offset:16
	ds_read_b32 v40, v40 offset:16
	ds_read_b32 v0, v3 offset:16
	v_add_u32_e32 v3, 1, v2
	v_cmp_ne_u32_e32 vcc, s0, v3
	v_mov_b32_e32 v1, 0x1600
	s_and_saveexec_b64 s[0:1], vcc
; %bb.336:
	v_mul_u32_u24_e32 v1, 20, v3
	ds_read_b32 v1, v1 offset:16
; %bb.337:
	s_or_b64 exec, exec, s[0:1]
	s_waitcnt lgkmcnt(7)
	v_add_u32_e32 v25, v12, v14
	s_waitcnt lgkmcnt(6)
	v_add3_u32 v26, v18, v15, v16
	v_lshlrev_b32_e32 v3, 2, v25
	s_waitcnt lgkmcnt(5)
	v_add3_u32 v23, v23, v19, v20
	s_waitcnt lgkmcnt(0)
	s_barrier
	ds_write_b32 v3, v11 offset:2048
	v_lshlrev_b32_e32 v3, 2, v26
	v_add3_u32 v24, v28, v24, v31
	ds_write_b32 v3, v13 offset:2048
	v_lshlrev_b32_e32 v3, 2, v23
	v_add3_u32 v28, v33, v29, v30
	;; [unrolled: 3-line block ×19, first 2 shown]
	ds_write_b32 v3, v88 offset:2048
	v_lshlrev_b32_e32 v3, 2, v53
	v_sub_u32_e32 v8, v1, v0
	v_lshl_add_u32 v14, s2, 8, v2
	v_mov_b32_e32 v15, 0
	ds_write_b32 v3, v91 offset:2048
	v_lshlrev_b32_e32 v3, 2, v54
	v_lshl_add_u64 v[12:13], v[14:15], 2, s[90:91]
	v_or_b32_e32 v1, 2.0, v8
	v_mov_b32_e32 v7, v5
	ds_write_b32 v3, v94 offset:2048
	s_waitcnt lgkmcnt(0)
	s_barrier
	global_store_dword v[12:13], v1, off sc1
	s_mov_b64 s[0:1], 0
	s_brev_b32 s12, -4
	v_mov_b32_e32 v1, 0
                                        ; implicit-def: $sgpr4_sgpr5
	s_branch .LBB15_340
.LBB15_338:                             ;   in Loop: Header=BB15_340 Depth=1
	s_or_b64 exec, exec, s[10:11]
.LBB15_339:                             ;   in Loop: Header=BB15_340 Depth=1
	s_or_b64 exec, exec, s[4:5]
	v_and_b32_e32 v9, 0x3fffffff, v3
	v_add_u32_e32 v1, v9, v1
	v_cmp_gt_i32_e64 s[4:5], -2.0, v3
	s_and_b64 s[10:11], exec, s[4:5]
	s_or_b64 s[0:1], s[10:11], s[0:1]
	s_andn2_b64 exec, exec, s[0:1]
	s_cbranch_execz .LBB15_345
.LBB15_340:                             ; =>This Loop Header: Depth=1
                                        ;     Child Loop BB15_343 Depth 2
	s_or_b64 s[4:5], s[4:5], exec
	s_cmp_eq_u32 s3, 0
	s_cbranch_scc1 .LBB15_344
; %bb.341:                              ;   in Loop: Header=BB15_340 Depth=1
	s_add_i32 s3, s3, -1
	v_lshl_add_u32 v14, s3, 8, v2
	v_lshl_add_u64 v[16:17], v[14:15], 2, s[90:91]
	global_load_dword v3, v[16:17], off sc1
	s_waitcnt vmcnt(0)
	v_cmp_gt_u32_e32 vcc, 2.0, v3
	s_and_saveexec_b64 s[4:5], vcc
	s_cbranch_execz .LBB15_339
; %bb.342:                              ;   in Loop: Header=BB15_340 Depth=1
	s_mov_b64 s[10:11], 0
.LBB15_343:                             ;   Parent Loop BB15_340 Depth=1
                                        ; =>  This Inner Loop Header: Depth=2
	global_load_dword v3, v[16:17], off sc1
	s_waitcnt vmcnt(0)
	v_cmp_lt_u32_e32 vcc, s12, v3
	s_or_b64 s[10:11], vcc, s[10:11]
	s_andn2_b64 exec, exec, s[10:11]
	s_cbranch_execnz .LBB15_343
	s_branch .LBB15_338
.LBB15_344:                             ;   in Loop: Header=BB15_340 Depth=1
                                        ; implicit-def: $sgpr3
	s_and_b64 s[10:11], exec, s[4:5]
	s_or_b64 s[0:1], s[10:11], s[0:1]
	s_andn2_b64 exec, exec, s[0:1]
	s_cbranch_execnz .LBB15_340
.LBB15_345:
	s_or_b64 exec, exec, s[0:1]
	v_add_u32_e32 v3, v1, v8
	v_or_b32_e32 v3, 0x80000000, v3
	v_readlane_b32 s12, v104, 0
	v_lshlrev_b32_e32 v9, 3, v2
	global_store_dword v[12:13], v3, off sc1
	v_readlane_b32 s13, v104, 1
	v_sub_co_u32_e32 v14, vcc, v1, v0
	v_sub_u32_e32 v1, v9, v10
	s_nop 0
	v_subb_co_u32_e64 v15, s[0:1], 0, 0, vcc
	s_nop 0
	global_load_dwordx2 v[12:13], v9, s[12:13]
	v_mov_b32_e32 v3, 0
	v_mov_b32_e32 v11, v3
	v_or_b32_e32 v16, 0x1000, v10
	v_add_u32_e32 v18, 0x1400, v10
	v_add_u32_e32 v20, 0x1800, v10
	;; [unrolled: 1-line block ×3, first 2 shown]
	v_mov_b32_e32 v17, v3
	v_mov_b32_e32 v19, v3
	;; [unrolled: 1-line block ×4, first 2 shown]
	s_add_u32 s0, s96, s6
	s_addc_u32 s1, s97, 0
	v_lshl_add_u64 v[4:5], s[0:1], 0, v[4:5]
	v_lshl_add_u64 v[4:5], v[4:5], 0, v[6:7]
	s_add_i32 s7, s7, -1
	v_readlane_b32 s14, v104, 2
	v_readlane_b32 s15, v104, 3
	s_cmp_lg_u32 s2, s7
	s_waitcnt vmcnt(0)
	v_lshl_add_u64 v[12:13], v[14:15], 0, v[12:13]
	ds_write_b64 v9, v[12:13]
	s_waitcnt lgkmcnt(0)
	s_barrier
	ds_read2st64_b32 v[12:13], v1 offset0:8 offset1:12
	ds_read2st64_b32 v[14:15], v1 offset0:16 offset1:20
	;; [unrolled: 1-line block ×6, first 2 shown]
	s_waitcnt lgkmcnt(5)
	v_lshrrev_b32_e32 v22, s8, v12
	v_xor_b32_e32 v27, 0x7fffffff, v12
	v_lshrrev_b32_e32 v12, s8, v13
	v_xor_b32_e32 v32, 0x7fffffff, v13
	s_waitcnt lgkmcnt(4)
	v_lshrrev_b32_e32 v13, s8, v14
	v_xor_b32_e32 v41, 0x7fffffff, v14
	v_lshrrev_b32_e32 v14, s8, v15
	v_xor_b32_e32 v42, 0x7fffffff, v15
	;; [unrolled: 5-line block ×3, first 2 shown]
	s_waitcnt lgkmcnt(2)
	v_lshrrev_b32_e32 v52, s8, v58
	v_lshrrev_b32_e32 v56, s8, v59
	s_waitcnt lgkmcnt(1)
	v_lshrrev_b32_e32 v57, s8, v60
	v_and_b32_e32 v22, s9, v22
	v_and_b32_e32 v12, s9, v12
	;; [unrolled: 1-line block ×9, first 2 shown]
	v_lshlrev_b32_e32 v22, 3, v22
	v_xor_b32_e32 v55, 0x7fffffff, v58
	v_xor_b32_e32 v74, 0x7fffffff, v59
	v_lshlrev_b32_e32 v75, 3, v12
	v_lshlrev_b32_e32 v76, 3, v13
	;; [unrolled: 1-line block ×8, first 2 shown]
	ds_read_b64 v[12:13], v22
	ds_read_b64 v[14:15], v75
	;; [unrolled: 1-line block ×9, first 2 shown]
	s_waitcnt lgkmcnt(8)
	v_lshl_add_u64 v[12:13], v[12:13], 2, s[94:95]
	s_waitcnt lgkmcnt(7)
	v_lshl_add_u64 v[14:15], v[14:15], 2, s[94:95]
	;; [unrolled: 2-line block ×4, first 2 shown]
	v_lshl_add_u64 v[12:13], v[12:13], 0, v[10:11]
	v_lshl_add_u64 v[14:15], v[14:15], 0, v[10:11]
	;; [unrolled: 1-line block ×4, first 2 shown]
	v_lshrrev_b32_e32 v11, s8, v61
	s_waitcnt lgkmcnt(4)
	v_lshl_add_u64 v[64:65], v[64:65], 2, s[94:95]
	s_waitcnt lgkmcnt(3)
	v_lshl_add_u64 v[66:67], v[66:67], 2, s[94:95]
	;; [unrolled: 2-line block ×4, first 2 shown]
	v_and_b32_e32 v11, s9, v11
	v_lshl_add_u64 v[16:17], v[64:65], 0, v[16:17]
	v_lshl_add_u64 v[18:19], v[66:67], 0, v[18:19]
	;; [unrolled: 1-line block ×4, first 2 shown]
	global_store_dword v[12:13], v27, off
	global_store_dword v[14:15], v32, off offset:1024
	global_store_dword v[56:57], v41, off offset:2048
	global_store_dword v[58:59], v42, off offset:3072
	global_store_dword v[16:17], v45, off
	global_store_dword v[18:19], v50, off
	;; [unrolled: 1-line block ×4, first 2 shown]
	v_lshlrev_b32_e32 v32, 3, v11
	v_lshrrev_b32_e32 v11, s8, v62
	v_and_b32_e32 v11, s9, v11
	v_lshlrev_b32_e32 v41, 3, v11
	v_lshrrev_b32_e32 v11, s8, v63
	v_and_b32_e32 v11, s9, v11
	v_lshlrev_b32_e32 v42, 3, v11
	ds_read_b64 v[12:13], v32
	ds_read_b64 v[14:15], v41
	;; [unrolled: 1-line block ×3, first 2 shown]
	s_waitcnt lgkmcnt(3)
	v_lshl_add_u64 v[18:19], v[72:73], 2, s[94:95]
	v_or_b32_e32 v20, 0x2000, v10
	v_mov_b32_e32 v21, v3
	v_xor_b32_e32 v60, 0x7fffffff, v60
	v_lshl_add_u64 v[18:19], v[18:19], 0, v[20:21]
	global_store_dword v[18:19], v60, off
	s_waitcnt lgkmcnt(2)
	v_lshl_add_u64 v[12:13], v[12:13], 2, s[94:95]
	v_add_u32_e32 v18, 0x2400, v10
	v_mov_b32_e32 v19, v3
	v_xor_b32_e32 v11, 0x7fffffff, v61
	v_lshl_add_u64 v[12:13], v[12:13], 0, v[18:19]
	global_store_dword v[12:13], v11, off
	s_waitcnt lgkmcnt(1)
	v_lshl_add_u64 v[12:13], v[14:15], 2, s[94:95]
	v_add_u32_e32 v14, 0x2800, v10
	v_mov_b32_e32 v15, v3
	v_lshl_add_u64 v[12:13], v[12:13], 0, v[14:15]
	ds_read2st64_b32 v[14:15], v1 offset0:56 offset1:60
	v_xor_b32_e32 v11, 0x7fffffff, v62
	global_store_dword v[12:13], v11, off
	s_waitcnt lgkmcnt(1)
	v_lshl_add_u64 v[12:13], v[16:17], 2, s[94:95]
	v_add_u32_e32 v16, 0x2c00, v10
	v_mov_b32_e32 v17, v3
	v_xor_b32_e32 v11, 0x7fffffff, v63
	v_lshl_add_u64 v[12:13], v[12:13], 0, v[16:17]
	global_store_dword v[12:13], v11, off
	s_waitcnt lgkmcnt(0)
	v_lshrrev_b32_e32 v11, s8, v14
	v_and_b32_e32 v11, s9, v11
	v_lshlrev_b32_e32 v45, 3, v11
	ds_read2st64_b32 v[12:13], v1 offset0:64 offset1:68
	ds_read_b64 v[16:17], v45
	v_lshrrev_b32_e32 v11, s8, v15
	v_and_b32_e32 v11, s9, v11
	v_lshlrev_b32_e32 v50, 3, v11
	s_waitcnt lgkmcnt(1)
	v_lshrrev_b32_e32 v11, s8, v12
	v_and_b32_e32 v11, s9, v11
	v_lshlrev_b32_e32 v55, 3, v11
	v_lshrrev_b32_e32 v11, s8, v13
	v_and_b32_e32 v11, s9, v11
	v_lshlrev_b32_e32 v60, 3, v11
	ds_read_b64 v[18:19], v50
	ds_read_b64 v[20:21], v55
	;; [unrolled: 1-line block ×3, first 2 shown]
	s_waitcnt lgkmcnt(3)
	v_lshl_add_u64 v[16:17], v[16:17], 2, s[94:95]
	v_or_b32_e32 v56, 0x3000, v10
	v_mov_b32_e32 v57, v3
	v_xor_b32_e32 v14, 0x7fffffff, v14
	v_lshl_add_u64 v[16:17], v[16:17], 0, v[56:57]
	global_store_dword v[16:17], v14, off
	v_xor_b32_e32 v11, 0x7fffffff, v15
	s_waitcnt lgkmcnt(2)
	v_lshl_add_u64 v[14:15], v[18:19], 2, s[94:95]
	v_add_u32_e32 v16, 0x3400, v10
	v_mov_b32_e32 v17, v3
	v_lshl_add_u64 v[14:15], v[14:15], 0, v[16:17]
	global_store_dword v[14:15], v11, off
	s_waitcnt lgkmcnt(1)
	v_lshl_add_u64 v[14:15], v[20:21], 2, s[94:95]
	v_add_u32_e32 v16, 0x3800, v10
	v_xor_b32_e32 v11, 0x7fffffff, v12
	v_lshl_add_u64 v[14:15], v[14:15], 0, v[16:17]
	global_store_dword v[14:15], v11, off
	ds_read2st64_b32 v[14:15], v1 offset0:72 offset1:76
	v_xor_b32_e32 v16, 0x7fffffff, v13
	s_waitcnt lgkmcnt(1)
	v_lshl_add_u64 v[12:13], v[36:37], 2, s[94:95]
	v_add_u32_e32 v10, 0x3c00, v10
	v_mov_b32_e32 v11, v3
	v_lshl_add_u64 v[10:11], v[12:13], 0, v[10:11]
	global_store_dword v[10:11], v16, off
	s_waitcnt lgkmcnt(0)
	v_lshrrev_b32_e32 v11, s8, v14
	v_and_b32_e32 v11, s9, v11
	v_lshlrev_b32_e32 v61, 3, v11
	ds_read2st64_b32 v[16:17], v1 offset0:80 offset1:84
	ds_read_b64 v[12:13], v61
	v_lshrrev_b32_e32 v11, s8, v15
	v_and_b32_e32 v11, s9, v11
	v_lshlrev_b32_e32 v62, 3, v11
	s_waitcnt lgkmcnt(1)
	v_lshrrev_b32_e32 v11, s8, v16
	v_and_b32_e32 v11, s9, v11
	v_lshlrev_b32_e32 v63, 3, v11
	v_lshrrev_b32_e32 v11, s8, v17
	v_or_b32_e32 v10, 0x1000, v2
	v_and_b32_e32 v11, s9, v11
	v_lshlrev_b32_e32 v64, 3, v11
	ds_read_b64 v[18:19], v62
	ds_read_b64 v[20:21], v63
	ds_read_b64 v[36:37], v64
	s_waitcnt lgkmcnt(3)
	v_lshl_add_u64 v[12:13], v[12:13], 2, s[94:95]
	v_lshlrev_b32_e32 v56, 2, v10
	v_xor_b32_e32 v14, 0x7fffffff, v14
	v_lshl_add_u64 v[12:13], v[12:13], 0, v[56:57]
	global_store_dword v[12:13], v14, off
	v_add_u32_e32 v12, 0x1100, v2
	v_xor_b32_e32 v11, 0x7fffffff, v15
	s_waitcnt lgkmcnt(2)
	v_lshl_add_u64 v[14:15], v[18:19], 2, s[94:95]
	v_lshlrev_b32_e32 v18, 2, v12
	v_mov_b32_e32 v19, v3
	v_lshl_add_u64 v[14:15], v[14:15], 0, v[18:19]
	global_store_dword v[14:15], v11, off
	v_add_u32_e32 v14, 0x1200, v2
	s_waitcnt lgkmcnt(1)
	v_lshl_add_u64 v[18:19], v[20:21], 2, s[94:95]
	v_lshlrev_b32_e32 v20, 2, v14
	v_mov_b32_e32 v21, v3
	v_xor_b32_e32 v11, 0x7fffffff, v16
	v_lshl_add_u64 v[18:19], v[18:19], 0, v[20:21]
	global_store_dword v[18:19], v11, off
	s_waitcnt lgkmcnt(0)
	v_lshl_add_u64 v[18:19], v[36:37], 2, s[94:95]
	ds_read2st64_b32 v[36:37], v1 offset0:88 offset1:92
	v_add_u32_e32 v16, 0x1300, v2
	v_lshlrev_b32_e32 v20, 2, v16
	v_lshl_add_u64 v[18:19], v[18:19], 0, v[20:21]
	v_xor_b32_e32 v11, 0x7fffffff, v17
	s_waitcnt lgkmcnt(0)
	v_lshrrev_b32_e32 v1, s8, v36
	v_and_b32_e32 v1, s9, v1
	v_lshlrev_b32_e32 v27, 3, v1
	ds_read_b64 v[20:21], v27
	v_lshrrev_b32_e32 v1, s8, v37
	v_and_b32_e32 v1, s9, v1
	v_lshlrev_b32_e32 v65, 3, v1
	ds_read_b64 v[56:57], v65
	global_store_dword v[18:19], v11, off
	v_or_b32_e32 v18, 0x1400, v2
	s_waitcnt lgkmcnt(1)
	v_lshl_add_u64 v[20:21], v[20:21], 2, s[94:95]
	v_lshlrev_b32_e32 v58, 2, v18
	v_mov_b32_e32 v59, v3
	v_xor_b32_e32 v11, 0x7fffffff, v36
	v_lshl_add_u64 v[20:21], v[20:21], 0, v[58:59]
	global_store_dword v[20:21], v11, off
	v_add_u32_e32 v20, 0x1500, v2
	v_xor_b32_e32 v1, 0x7fffffff, v37
	s_waitcnt lgkmcnt(0)
	v_lshl_add_u64 v[36:37], v[56:57], 2, s[94:95]
	v_lshlrev_b32_e32 v56, 2, v20
	v_mov_b32_e32 v57, v3
	v_lshl_add_u64 v[36:37], v[36:37], 0, v[56:57]
	global_store_dword v[36:37], v1, off
	global_load_ubyte v6, v[4:5], off
	global_load_ubyte v7, v[4:5], off offset:64
	s_nop 0
	global_load_ubyte v36, v[4:5], off offset:128
	global_load_ubyte v37, v[4:5], off offset:192
	global_load_ubyte v56, v[4:5], off offset:256
	global_load_ubyte v57, v[4:5], off offset:320
	global_load_ubyte v58, v[4:5], off offset:384
	global_load_ubyte v59, v[4:5], off offset:448
	global_load_ubyte v66, v[4:5], off offset:512
	global_load_ubyte v67, v[4:5], off offset:576
	global_load_ubyte v68, v[4:5], off offset:640
	global_load_ubyte v69, v[4:5], off offset:704
	global_load_ubyte v70, v[4:5], off offset:768
	global_load_ubyte v71, v[4:5], off offset:832
	global_load_ubyte v72, v[4:5], off offset:896
	global_load_ubyte v73, v[4:5], off offset:960
	global_load_ubyte v74, v[4:5], off offset:1024
	global_load_ubyte v81, v[4:5], off offset:1088
	global_load_ubyte v82, v[4:5], off offset:1152
	global_load_ubyte v83, v[4:5], off offset:1216
	global_load_ubyte v84, v[4:5], off offset:1280
	global_load_ubyte v85, v[4:5], off offset:1344
	s_barrier
	s_waitcnt vmcnt(21)
	ds_write_b8 v25, v6 offset:2048
	s_waitcnt vmcnt(20)
	ds_write_b8 v26, v7 offset:2048
	;; [unrolled: 2-line block ×22, first 2 shown]
	s_waitcnt lgkmcnt(0)
	s_barrier
	ds_read_b64 v[4:5], v22
	ds_read_u8 v30, v2 offset:2048
	ds_read_b64 v[6:7], v75
	ds_read_b64 v[22:23], v76
	;; [unrolled: 1-line block ×3, first 2 shown]
	s_waitcnt lgkmcnt(4)
	v_lshl_add_u64 v[4:5], s[98:99], 0, v[4:5]
	v_lshl_add_u64 v[4:5], v[4:5], 0, v[2:3]
	ds_read_u8 v31, v2 offset:2304
	ds_read_b64 v[26:27], v27
	ds_read_b64 v[28:29], v65
	s_waitcnt lgkmcnt(6)
	global_store_byte v[4:5], v30, off
	s_waitcnt lgkmcnt(5)
	v_lshl_add_u64 v[4:5], s[98:99], 0, v[6:7]
	v_lshl_add_u64 v[4:5], v[4:5], 0, v[2:3]
	s_waitcnt lgkmcnt(2)
	global_store_byte v[4:5], v31, off offset:256
	v_lshl_add_u64 v[4:5], s[98:99], 0, v[22:23]
	v_lshl_add_u64 v[4:5], v[4:5], 0, v[2:3]
	ds_read_u8 v6, v2 offset:2560
	ds_read_u8 v22, v2 offset:2816
	;; [unrolled: 1-line block ×8, first 2 shown]
	s_waitcnt lgkmcnt(7)
	global_store_byte v[4:5], v6, off offset:512
	v_lshl_add_u64 v[4:5], s[98:99], 0, v[24:25]
	v_lshl_add_u64 v[4:5], v[4:5], 0, v[2:3]
	ds_read_b64 v[6:7], v78
	s_waitcnt lgkmcnt(7)
	global_store_byte v[4:5], v22, off offset:768
	ds_read_b64 v[4:5], v47
	ds_read_b64 v[22:23], v52
	;; [unrolled: 1-line block ×3, first 2 shown]
	v_mov_b32_e32 v11, v3
	v_mov_b32_e32 v13, v3
	s_waitcnt lgkmcnt(3)
	v_lshl_add_u64 v[6:7], s[98:99], 0, v[6:7]
	s_waitcnt lgkmcnt(2)
	v_lshl_add_u64 v[4:5], s[98:99], 0, v[4:5]
	v_lshl_add_u64 v[6:7], v[6:7], 0, v[2:3]
	;; [unrolled: 1-line block ×3, first 2 shown]
	global_store_byte v[6:7], v30, off offset:1024
	global_store_byte v[4:5], v31, off offset:1280
	s_waitcnt lgkmcnt(1)
	v_lshl_add_u64 v[4:5], s[98:99], 0, v[22:23]
	v_lshl_add_u64 v[4:5], v[4:5], 0, v[2:3]
	global_store_byte v[4:5], v33, off offset:1536
	s_waitcnt lgkmcnt(0)
	v_lshl_add_u64 v[4:5], s[98:99], 0, v[24:25]
	v_lshl_add_u64 v[4:5], v[4:5], 0, v[2:3]
	ds_read_b64 v[6:7], v80
	global_store_byte v[4:5], v34, off offset:1792
	ds_read_b64 v[4:5], v32
	ds_read_b64 v[22:23], v41
	;; [unrolled: 1-line block ×3, first 2 shown]
	v_mov_b32_e32 v15, v3
	v_mov_b32_e32 v17, v3
	s_waitcnt lgkmcnt(3)
	v_lshl_add_u64 v[6:7], s[98:99], 0, v[6:7]
	s_waitcnt lgkmcnt(2)
	v_lshl_add_u64 v[4:5], s[98:99], 0, v[4:5]
	v_lshl_add_u64 v[6:7], v[6:7], 0, v[2:3]
	;; [unrolled: 1-line block ×3, first 2 shown]
	global_store_byte v[6:7], v35, off offset:2048
	global_store_byte v[4:5], v36, off offset:2304
	s_waitcnt lgkmcnt(1)
	v_lshl_add_u64 v[4:5], s[98:99], 0, v[22:23]
	v_lshl_add_u64 v[4:5], v[4:5], 0, v[2:3]
	ds_read_u8 v6, v2 offset:4608
	ds_read_u8 v22, v2 offset:4864
	;; [unrolled: 1-line block ×8, first 2 shown]
	s_waitcnt lgkmcnt(7)
	global_store_byte v[4:5], v6, off offset:2560
	v_lshl_add_u64 v[4:5], s[98:99], 0, v[24:25]
	v_lshl_add_u64 v[4:5], v[4:5], 0, v[2:3]
	ds_read_b64 v[6:7], v45
	s_waitcnt lgkmcnt(7)
	global_store_byte v[4:5], v22, off offset:2816
	ds_read_b64 v[4:5], v50
	ds_read_b64 v[22:23], v55
	;; [unrolled: 1-line block ×3, first 2 shown]
	v_mov_b32_e32 v19, v3
	v_mov_b32_e32 v21, v3
	s_waitcnt lgkmcnt(3)
	v_lshl_add_u64 v[6:7], s[98:99], 0, v[6:7]
	s_waitcnt lgkmcnt(2)
	v_lshl_add_u64 v[4:5], s[98:99], 0, v[4:5]
	v_lshl_add_u64 v[6:7], v[6:7], 0, v[2:3]
	v_lshl_add_u64 v[4:5], v[4:5], 0, v[2:3]
	global_store_byte v[6:7], v30, off offset:3072
	global_store_byte v[4:5], v31, off offset:3328
	s_waitcnt lgkmcnt(1)
	v_lshl_add_u64 v[4:5], s[98:99], 0, v[22:23]
	ds_read_b64 v[6:7], v61
	v_lshl_add_u64 v[4:5], v[4:5], 0, v[2:3]
	global_store_byte v[4:5], v32, off offset:3584
	s_waitcnt lgkmcnt(1)
	v_lshl_add_u64 v[4:5], s[98:99], 0, v[24:25]
	v_lshl_add_u64 v[4:5], v[4:5], 0, v[2:3]
	global_store_byte v[4:5], v33, off offset:3840
	ds_read_b64 v[4:5], v62
	ds_read_b64 v[22:23], v63
	;; [unrolled: 1-line block ×3, first 2 shown]
	s_waitcnt lgkmcnt(3)
	v_lshl_add_u64 v[6:7], s[98:99], 0, v[6:7]
	v_lshl_add_u64 v[6:7], v[6:7], 0, v[10:11]
	global_store_byte v[6:7], v34, off
	ds_read_u8 v6, v2 offset:6656
	s_waitcnt lgkmcnt(3)
	v_lshl_add_u64 v[4:5], s[98:99], 0, v[4:5]
	v_lshl_add_u64 v[4:5], v[4:5], 0, v[12:13]
	global_store_byte v[4:5], v35, off
	s_waitcnt lgkmcnt(2)
	v_lshl_add_u64 v[4:5], s[98:99], 0, v[22:23]
	v_lshl_add_u64 v[4:5], v[4:5], 0, v[14:15]
	ds_read_u8 v7, v2 offset:6912
	ds_read_u8 v10, v2 offset:7168
	;; [unrolled: 1-line block ×3, first 2 shown]
	s_waitcnt lgkmcnt(3)
	global_store_byte v[4:5], v6, off
	v_lshl_add_u64 v[4:5], s[98:99], 0, v[24:25]
	v_lshl_add_u64 v[4:5], v[4:5], 0, v[16:17]
	s_waitcnt lgkmcnt(2)
	global_store_byte v[4:5], v7, off
	v_lshl_add_u64 v[4:5], s[98:99], 0, v[26:27]
	v_lshl_add_u64 v[4:5], v[4:5], 0, v[18:19]
	;; [unrolled: 4-line block ×3, first 2 shown]
	s_waitcnt lgkmcnt(0)
	global_store_byte v[4:5], v11, off
	s_cbranch_scc1 .LBB15_347
; %bb.346:
	ds_read_b64 v[4:5], v9
	v_mov_b32_e32 v1, v3
	v_mov_b32_e32 v9, v3
	v_lshl_add_u64 v[0:1], v[8:9], 0, v[0:1]
	v_lshlrev_b32_e32 v2, 3, v2
	s_waitcnt lgkmcnt(0)
	v_lshl_add_u64 v[0:1], v[0:1], 0, v[4:5]
	global_store_dwordx2 v2, v[0:1], s[14:15]
.LBB15_347:
	s_endpgm
	.section	.rodata,"a",@progbits
	.p2align	6, 0x0
	.amdhsa_kernel _ZN7rocprim17ROCPRIM_304000_NS6detail25onesweep_iteration_kernelINS1_34wrapped_radix_sort_onesweep_configINS0_14default_configEiN2at4cuda3cub6detail10OpaqueTypeILi1EEEEELb1EPiSC_PSA_SD_mNS0_19identity_decomposerEEEvT1_T2_T3_T4_jPT5_SK_PNS1_23onesweep_lookback_stateET6_jjj
		.amdhsa_group_segment_fixed_size 24576
		.amdhsa_private_segment_fixed_size 0
		.amdhsa_kernarg_size 336
		.amdhsa_user_sgpr_count 2
		.amdhsa_user_sgpr_dispatch_ptr 0
		.amdhsa_user_sgpr_queue_ptr 0
		.amdhsa_user_sgpr_kernarg_segment_ptr 1
		.amdhsa_user_sgpr_dispatch_id 0
		.amdhsa_user_sgpr_kernarg_preload_length 0
		.amdhsa_user_sgpr_kernarg_preload_offset 0
		.amdhsa_user_sgpr_private_segment_size 0
		.amdhsa_uses_dynamic_stack 0
		.amdhsa_enable_private_segment 0
		.amdhsa_system_sgpr_workgroup_id_x 1
		.amdhsa_system_sgpr_workgroup_id_y 0
		.amdhsa_system_sgpr_workgroup_id_z 0
		.amdhsa_system_sgpr_workgroup_info 0
		.amdhsa_system_vgpr_workitem_id 2
		.amdhsa_next_free_vgpr 105
		.amdhsa_next_free_sgpr 100
		.amdhsa_accum_offset 108
		.amdhsa_reserve_vcc 1
		.amdhsa_float_round_mode_32 0
		.amdhsa_float_round_mode_16_64 0
		.amdhsa_float_denorm_mode_32 3
		.amdhsa_float_denorm_mode_16_64 3
		.amdhsa_dx10_clamp 1
		.amdhsa_ieee_mode 1
		.amdhsa_fp16_overflow 0
		.amdhsa_tg_split 0
		.amdhsa_exception_fp_ieee_invalid_op 0
		.amdhsa_exception_fp_denorm_src 0
		.amdhsa_exception_fp_ieee_div_zero 0
		.amdhsa_exception_fp_ieee_overflow 0
		.amdhsa_exception_fp_ieee_underflow 0
		.amdhsa_exception_fp_ieee_inexact 0
		.amdhsa_exception_int_div_zero 0
	.end_amdhsa_kernel
	.section	.text._ZN7rocprim17ROCPRIM_304000_NS6detail25onesweep_iteration_kernelINS1_34wrapped_radix_sort_onesweep_configINS0_14default_configEiN2at4cuda3cub6detail10OpaqueTypeILi1EEEEELb1EPiSC_PSA_SD_mNS0_19identity_decomposerEEEvT1_T2_T3_T4_jPT5_SK_PNS1_23onesweep_lookback_stateET6_jjj,"axG",@progbits,_ZN7rocprim17ROCPRIM_304000_NS6detail25onesweep_iteration_kernelINS1_34wrapped_radix_sort_onesweep_configINS0_14default_configEiN2at4cuda3cub6detail10OpaqueTypeILi1EEEEELb1EPiSC_PSA_SD_mNS0_19identity_decomposerEEEvT1_T2_T3_T4_jPT5_SK_PNS1_23onesweep_lookback_stateET6_jjj,comdat
.Lfunc_end15:
	.size	_ZN7rocprim17ROCPRIM_304000_NS6detail25onesweep_iteration_kernelINS1_34wrapped_radix_sort_onesweep_configINS0_14default_configEiN2at4cuda3cub6detail10OpaqueTypeILi1EEEEELb1EPiSC_PSA_SD_mNS0_19identity_decomposerEEEvT1_T2_T3_T4_jPT5_SK_PNS1_23onesweep_lookback_stateET6_jjj, .Lfunc_end15-_ZN7rocprim17ROCPRIM_304000_NS6detail25onesweep_iteration_kernelINS1_34wrapped_radix_sort_onesweep_configINS0_14default_configEiN2at4cuda3cub6detail10OpaqueTypeILi1EEEEELb1EPiSC_PSA_SD_mNS0_19identity_decomposerEEEvT1_T2_T3_T4_jPT5_SK_PNS1_23onesweep_lookback_stateET6_jjj
                                        ; -- End function
	.set _ZN7rocprim17ROCPRIM_304000_NS6detail25onesweep_iteration_kernelINS1_34wrapped_radix_sort_onesweep_configINS0_14default_configEiN2at4cuda3cub6detail10OpaqueTypeILi1EEEEELb1EPiSC_PSA_SD_mNS0_19identity_decomposerEEEvT1_T2_T3_T4_jPT5_SK_PNS1_23onesweep_lookback_stateET6_jjj.num_vgpr, 105
	.set _ZN7rocprim17ROCPRIM_304000_NS6detail25onesweep_iteration_kernelINS1_34wrapped_radix_sort_onesweep_configINS0_14default_configEiN2at4cuda3cub6detail10OpaqueTypeILi1EEEEELb1EPiSC_PSA_SD_mNS0_19identity_decomposerEEEvT1_T2_T3_T4_jPT5_SK_PNS1_23onesweep_lookback_stateET6_jjj.num_agpr, 0
	.set _ZN7rocprim17ROCPRIM_304000_NS6detail25onesweep_iteration_kernelINS1_34wrapped_radix_sort_onesweep_configINS0_14default_configEiN2at4cuda3cub6detail10OpaqueTypeILi1EEEEELb1EPiSC_PSA_SD_mNS0_19identity_decomposerEEEvT1_T2_T3_T4_jPT5_SK_PNS1_23onesweep_lookback_stateET6_jjj.numbered_sgpr, 100
	.set _ZN7rocprim17ROCPRIM_304000_NS6detail25onesweep_iteration_kernelINS1_34wrapped_radix_sort_onesweep_configINS0_14default_configEiN2at4cuda3cub6detail10OpaqueTypeILi1EEEEELb1EPiSC_PSA_SD_mNS0_19identity_decomposerEEEvT1_T2_T3_T4_jPT5_SK_PNS1_23onesweep_lookback_stateET6_jjj.num_named_barrier, 0
	.set _ZN7rocprim17ROCPRIM_304000_NS6detail25onesweep_iteration_kernelINS1_34wrapped_radix_sort_onesweep_configINS0_14default_configEiN2at4cuda3cub6detail10OpaqueTypeILi1EEEEELb1EPiSC_PSA_SD_mNS0_19identity_decomposerEEEvT1_T2_T3_T4_jPT5_SK_PNS1_23onesweep_lookback_stateET6_jjj.private_seg_size, 0
	.set _ZN7rocprim17ROCPRIM_304000_NS6detail25onesweep_iteration_kernelINS1_34wrapped_radix_sort_onesweep_configINS0_14default_configEiN2at4cuda3cub6detail10OpaqueTypeILi1EEEEELb1EPiSC_PSA_SD_mNS0_19identity_decomposerEEEvT1_T2_T3_T4_jPT5_SK_PNS1_23onesweep_lookback_stateET6_jjj.uses_vcc, 1
	.set _ZN7rocprim17ROCPRIM_304000_NS6detail25onesweep_iteration_kernelINS1_34wrapped_radix_sort_onesweep_configINS0_14default_configEiN2at4cuda3cub6detail10OpaqueTypeILi1EEEEELb1EPiSC_PSA_SD_mNS0_19identity_decomposerEEEvT1_T2_T3_T4_jPT5_SK_PNS1_23onesweep_lookback_stateET6_jjj.uses_flat_scratch, 0
	.set _ZN7rocprim17ROCPRIM_304000_NS6detail25onesweep_iteration_kernelINS1_34wrapped_radix_sort_onesweep_configINS0_14default_configEiN2at4cuda3cub6detail10OpaqueTypeILi1EEEEELb1EPiSC_PSA_SD_mNS0_19identity_decomposerEEEvT1_T2_T3_T4_jPT5_SK_PNS1_23onesweep_lookback_stateET6_jjj.has_dyn_sized_stack, 0
	.set _ZN7rocprim17ROCPRIM_304000_NS6detail25onesweep_iteration_kernelINS1_34wrapped_radix_sort_onesweep_configINS0_14default_configEiN2at4cuda3cub6detail10OpaqueTypeILi1EEEEELb1EPiSC_PSA_SD_mNS0_19identity_decomposerEEEvT1_T2_T3_T4_jPT5_SK_PNS1_23onesweep_lookback_stateET6_jjj.has_recursion, 0
	.set _ZN7rocprim17ROCPRIM_304000_NS6detail25onesweep_iteration_kernelINS1_34wrapped_radix_sort_onesweep_configINS0_14default_configEiN2at4cuda3cub6detail10OpaqueTypeILi1EEEEELb1EPiSC_PSA_SD_mNS0_19identity_decomposerEEEvT1_T2_T3_T4_jPT5_SK_PNS1_23onesweep_lookback_stateET6_jjj.has_indirect_call, 0
	.section	.AMDGPU.csdata,"",@progbits
; Kernel info:
; codeLenInByte = 32128
; TotalNumSgprs: 106
; NumVgprs: 105
; NumAgprs: 0
; TotalNumVgprs: 105
; ScratchSize: 0
; MemoryBound: 0
; FloatMode: 240
; IeeeMode: 1
; LDSByteSize: 24576 bytes/workgroup (compile time only)
; SGPRBlocks: 13
; VGPRBlocks: 13
; NumSGPRsForWavesPerEU: 106
; NumVGPRsForWavesPerEU: 105
; AccumOffset: 108
; Occupancy: 4
; WaveLimiterHint : 1
; COMPUTE_PGM_RSRC2:SCRATCH_EN: 0
; COMPUTE_PGM_RSRC2:USER_SGPR: 2
; COMPUTE_PGM_RSRC2:TRAP_HANDLER: 0
; COMPUTE_PGM_RSRC2:TGID_X_EN: 1
; COMPUTE_PGM_RSRC2:TGID_Y_EN: 0
; COMPUTE_PGM_RSRC2:TGID_Z_EN: 0
; COMPUTE_PGM_RSRC2:TIDIG_COMP_CNT: 2
; COMPUTE_PGM_RSRC3_GFX90A:ACCUM_OFFSET: 26
; COMPUTE_PGM_RSRC3_GFX90A:TG_SPLIT: 0
	.section	.text._ZN7rocprim17ROCPRIM_304000_NS6detail28radix_sort_block_sort_kernelINS1_36wrapped_radix_sort_block_sort_configINS0_13kernel_configILj256ELj4ELj4294967295EEEiN2at4cuda3cub6detail10OpaqueTypeILi1EEEEELb0EPKiPiPKSB_PSB_NS0_19identity_decomposerEEEvT1_T2_T3_T4_jT5_jj,"axG",@progbits,_ZN7rocprim17ROCPRIM_304000_NS6detail28radix_sort_block_sort_kernelINS1_36wrapped_radix_sort_block_sort_configINS0_13kernel_configILj256ELj4ELj4294967295EEEiN2at4cuda3cub6detail10OpaqueTypeILi1EEEEELb0EPKiPiPKSB_PSB_NS0_19identity_decomposerEEEvT1_T2_T3_T4_jT5_jj,comdat
	.protected	_ZN7rocprim17ROCPRIM_304000_NS6detail28radix_sort_block_sort_kernelINS1_36wrapped_radix_sort_block_sort_configINS0_13kernel_configILj256ELj4ELj4294967295EEEiN2at4cuda3cub6detail10OpaqueTypeILi1EEEEELb0EPKiPiPKSB_PSB_NS0_19identity_decomposerEEEvT1_T2_T3_T4_jT5_jj ; -- Begin function _ZN7rocprim17ROCPRIM_304000_NS6detail28radix_sort_block_sort_kernelINS1_36wrapped_radix_sort_block_sort_configINS0_13kernel_configILj256ELj4ELj4294967295EEEiN2at4cuda3cub6detail10OpaqueTypeILi1EEEEELb0EPKiPiPKSB_PSB_NS0_19identity_decomposerEEEvT1_T2_T3_T4_jT5_jj
	.globl	_ZN7rocprim17ROCPRIM_304000_NS6detail28radix_sort_block_sort_kernelINS1_36wrapped_radix_sort_block_sort_configINS0_13kernel_configILj256ELj4ELj4294967295EEEiN2at4cuda3cub6detail10OpaqueTypeILi1EEEEELb0EPKiPiPKSB_PSB_NS0_19identity_decomposerEEEvT1_T2_T3_T4_jT5_jj
	.p2align	8
	.type	_ZN7rocprim17ROCPRIM_304000_NS6detail28radix_sort_block_sort_kernelINS1_36wrapped_radix_sort_block_sort_configINS0_13kernel_configILj256ELj4ELj4294967295EEEiN2at4cuda3cub6detail10OpaqueTypeILi1EEEEELb0EPKiPiPKSB_PSB_NS0_19identity_decomposerEEEvT1_T2_T3_T4_jT5_jj,@function
_ZN7rocprim17ROCPRIM_304000_NS6detail28radix_sort_block_sort_kernelINS1_36wrapped_radix_sort_block_sort_configINS0_13kernel_configILj256ELj4ELj4294967295EEEiN2at4cuda3cub6detail10OpaqueTypeILi1EEEEELb0EPKiPiPKSB_PSB_NS0_19identity_decomposerEEEvT1_T2_T3_T4_jT5_jj: ; @_ZN7rocprim17ROCPRIM_304000_NS6detail28radix_sort_block_sort_kernelINS1_36wrapped_radix_sort_block_sort_configINS0_13kernel_configILj256ELj4ELj4294967295EEEiN2at4cuda3cub6detail10OpaqueTypeILi1EEEEELb0EPKiPiPKSB_PSB_NS0_19identity_decomposerEEEvT1_T2_T3_T4_jT5_jj
; %bb.0:
	s_load_dword s4, s[0:1], 0x20
	s_load_dwordx8 s[36:43], s[0:1], 0x0
	s_lshl_b32 s28, s2, 10
	s_mov_b32 s29, 0
	v_and_b32_e32 v6, 0x3ff, v0
	s_waitcnt lgkmcnt(0)
	s_lshr_b32 s3, s4, 10
	s_cmp_lg_u32 s2, s3
	s_cselect_b64 s[30:31], -1, 0
	s_lshl_b64 s[34:35], s[28:29], 2
	v_mbcnt_lo_u32_b32 v1, -1, 0
	s_add_u32 s6, s36, s34
	v_mbcnt_hi_u32_b32 v10, -1, v1
	v_lshlrev_b32_e32 v8, 2, v6
	v_mov_b32_e32 v11, 0
	s_addc_u32 s7, s37, s35
	v_and_b32_e32 v12, 0x300, v8
	v_lshlrev_b32_e32 v2, 2, v10
	v_mov_b32_e32 v3, v11
	v_lshl_add_u64 v[2:3], s[6:7], 0, v[2:3]
	v_lshlrev_b32_e32 v4, 2, v12
	v_mov_b32_e32 v5, v11
	s_cmp_eq_u32 s2, s3
	v_mov_b32_e32 v13, v11
	v_lshl_add_u64 v[14:15], v[2:3], 0, v[4:5]
	v_add_u32_e32 v1, v10, v12
	s_cbranch_scc1 .LBB16_2
; %bb.1:
	s_add_u32 s2, s40, s28
	s_addc_u32 s3, s41, 0
	v_lshl_add_u64 v[16:17], s[2:3], 0, v[10:11]
	v_lshl_add_u64 v[16:17], v[16:17], 0, v[12:13]
	global_load_dword v2, v[14:15], off
	global_load_dword v3, v[14:15], off offset:256
	global_load_dword v4, v[14:15], off offset:512
	;; [unrolled: 1-line block ×3, first 2 shown]
	global_load_ubyte v41, v[16:17], off
	global_load_ubyte v42, v[16:17], off offset:64
	global_load_ubyte v43, v[16:17], off offset:128
	;; [unrolled: 1-line block ×3, first 2 shown]
	v_add_u32_e32 v17, v10, v12
	v_add_u32_e32 v7, 64, v17
	;; [unrolled: 1-line block ×4, first 2 shown]
	s_sub_i32 s29, s4, s28
	s_cbranch_execz .LBB16_3
	s_branch .LBB16_17
.LBB16_2:
                                        ; implicit-def: $vgpr2_vgpr3_vgpr4_vgpr5
                                        ; implicit-def: $vgpr41
                                        ; implicit-def: $vgpr42
                                        ; implicit-def: $vgpr43
                                        ; implicit-def: $vgpr44
                                        ; implicit-def: $vgpr17
                                        ; implicit-def: $vgpr7
                                        ; implicit-def: $vgpr9
                                        ; implicit-def: $vgpr16
	s_sub_i32 s29, s4, s28
.LBB16_3:
	s_waitcnt vmcnt(7)
	v_bfrev_b32_e32 v2, -2
	v_cmp_gt_u32_e32 vcc, s29, v1
	s_waitcnt vmcnt(6)
	v_mov_b32_e32 v3, v2
	s_waitcnt vmcnt(5)
	v_mov_b32_e32 v4, v2
	;; [unrolled: 2-line block ×3, first 2 shown]
	s_and_saveexec_b64 s[2:3], vcc
	s_cbranch_execz .LBB16_5
; %bb.4:
	global_load_dword v16, v[14:15], off
	v_mov_b32_e32 v17, v2
	v_mov_b32_e32 v18, v2
	;; [unrolled: 1-line block ×3, first 2 shown]
	s_waitcnt vmcnt(0)
	v_mov_b64_e32 v[2:3], v[16:17]
	v_mov_b64_e32 v[4:5], v[18:19]
.LBB16_5:
	s_or_b64 exec, exec, s[2:3]
	v_add_u32_e32 v7, 64, v1
	v_cmp_gt_u32_e64 s[2:3], s29, v7
	s_and_saveexec_b64 s[4:5], s[2:3]
	s_cbranch_execz .LBB16_7
; %bb.6:
	global_load_dword v3, v[14:15], off offset:256
.LBB16_7:
	s_or_b64 exec, exec, s[4:5]
	v_add_u32_e32 v9, 0x80, v1
	v_cmp_gt_u32_e64 s[4:5], s29, v9
	s_and_saveexec_b64 s[6:7], s[4:5]
	s_cbranch_execz .LBB16_9
; %bb.8:
	global_load_dword v4, v[14:15], off offset:512
.LBB16_9:
	;; [unrolled: 8-line block ×3, first 2 shown]
	s_or_b64 exec, exec, s[8:9]
	s_add_u32 s8, s40, s28
	s_addc_u32 s9, s41, 0
	v_lshl_add_u64 v[14:15], s[8:9], 0, v[10:11]
	v_lshl_add_u64 v[12:13], v[14:15], 0, v[12:13]
                                        ; implicit-def: $vgpr41
	s_and_saveexec_b64 s[8:9], vcc
	s_cbranch_execnz .LBB16_54
; %bb.12:
	s_or_b64 exec, exec, s[8:9]
                                        ; implicit-def: $vgpr42
	s_and_saveexec_b64 s[8:9], s[2:3]
	s_cbranch_execnz .LBB16_55
.LBB16_13:
	s_or_b64 exec, exec, s[8:9]
                                        ; implicit-def: $vgpr43
	s_and_saveexec_b64 s[2:3], s[4:5]
	s_cbranch_execnz .LBB16_56
.LBB16_14:
	s_or_b64 exec, exec, s[2:3]
                                        ; implicit-def: $vgpr44
	s_and_saveexec_b64 s[2:3], s[6:7]
	s_cbranch_execz .LBB16_16
.LBB16_15:
	global_load_ubyte v44, v[12:13], off offset:192
.LBB16_16:
	s_or_b64 exec, exec, s[2:3]
	v_mov_b32_e32 v17, v1
.LBB16_17:
	s_load_dwordx2 s[36:37], s[0:1], 0x28
	s_waitcnt vmcnt(7)
	v_xor_b32_e32 v1, 0x80000000, v2
	s_load_dword s0, s[0:1], 0x3c
	s_waitcnt vmcnt(0)
	v_xor_b32_e32 v2, 0x80000000, v3
	v_xor_b32_e32 v3, 0x80000000, v4
	v_bfe_u32 v4, v0, 10, 10
	v_bfe_u32 v0, v0, 20, 10
	s_waitcnt lgkmcnt(0)
	s_lshr_b32 s1, s0, 16
	s_and_b32 s0, s0, 0xffff
	v_mad_u32_u24 v0, v0, s1, v4
	v_xor_b32_e32 v12, 0x80000000, v5
	v_mad_u64_u32 v[4:5], s[0:1], v0, s0, v[6:7]
	v_lshrrev_b32_e32 v0, 4, v4
	v_and_b32_e32 v15, 0xffffffc, v0
	v_and_b32_e32 v0, 15, v10
	v_cmp_eq_u32_e64 s[0:1], 0, v0
	v_cmp_lt_u32_e64 s[2:3], 1, v0
	v_cmp_lt_u32_e64 s[4:5], 3, v0
	;; [unrolled: 1-line block ×3, first 2 shown]
	v_and_b32_e32 v0, 16, v10
	v_cmp_eq_u32_e64 s[8:9], 0, v0
	v_and_b32_e32 v0, 0x3c0, v6
	v_min_u32_e32 v0, 0xc0, v0
	v_or_b32_e32 v0, 63, v0
	v_cmp_eq_u32_e64 s[12:13], v6, v0
	v_subrev_co_u32_e64 v0, s[18:19], 1, v10
	v_and_b32_e32 v4, 64, v10
	v_cmp_lt_i32_e32 vcc, v0, v4
	s_mov_b32 s26, 0
	s_mov_b32 s27, s26
	v_cndmask_b32_e32 v0, v0, v10, vcc
	v_lshlrev_b32_e32 v19, 2, v0
	v_lshrrev_b32_e32 v0, 4, v6
	v_and_b32_e32 v20, 60, v0
	v_and_b32_e32 v0, 3, v10
	s_mov_b32 s40, s26
	s_mov_b32 s41, s26
	s_add_i32 s33, s37, s36
	v_lshlrev_b32_e32 v14, 2, v8
	v_cmp_lt_u32_e64 s[10:11], 31, v10
	v_cmp_gt_u32_e64 s[14:15], 4, v6
	v_cmp_lt_u32_e64 s[16:17], 63, v6
	v_cmp_eq_u32_e64 s[20:21], 0, v6
	v_mul_i32_i24_e32 v18, -12, v6
	v_cmp_eq_u32_e64 s[22:23], 0, v0
	v_cmp_lt_u32_e64 s[24:25], 1, v0
	v_add_u32_e32 v21, -4, v20
	v_lshlrev_b32_e32 v22, 2, v17
	v_lshlrev_b32_e32 v23, 2, v7
	;; [unrolled: 1-line block ×4, first 2 shown]
	v_mov_b64_e32 v[4:5], s[26:27]
	v_mov_b64_e32 v[10:11], s[40:41]
	v_mov_b32_e32 v13, 0
	s_branch .LBB16_19
.LBB16_18:                              ;   in Loop: Header=BB16_19 Depth=1
	s_andn2_b64 vcc, exec, s[26:27]
	s_mov_b32 s37, s40
	s_cbranch_vccz .LBB16_35
.LBB16_19:                              ; =>This Inner Loop Header: Depth=1
	v_mov_b32_e32 v33, v1
	s_min_u32 s26, s37, 8
	s_lshl_b32 s40, -1, s26
	v_lshrrev_b32_e32 v0, s36, v33
	v_mov_b32_e32 v32, v2
	v_bitop3_b32 v2, v0, s40, v0 bitop3:0x30
	v_mov_b32_e32 v30, v12
	v_and_b32_e32 v12, 1, v2
	v_lshl_add_u64 v[0:1], v[12:13], 0, -1
	v_cmp_ne_u32_e32 vcc, 0, v12
	v_mov_b32_e32 v31, v3
	v_lshlrev_b32_e32 v3, 4, v2
	v_xor_b32_e32 v1, vcc_hi, v1
	v_xor_b32_e32 v0, vcc_lo, v0
	v_and_b32_e32 v12, exec_hi, v1
	v_and_b32_e32 v34, exec_lo, v0
	v_lshlrev_b32_e32 v1, 30, v2
	v_mov_b32_e32 v0, v13
	v_cmp_gt_i64_e32 vcc, 0, v[0:1]
	v_not_b32_e32 v0, v1
	v_ashrrev_i32_e32 v0, 31, v0
	v_xor_b32_e32 v1, vcc_hi, v0
	v_xor_b32_e32 v0, vcc_lo, v0
	v_and_b32_e32 v12, v12, v1
	v_and_b32_e32 v34, v34, v0
	v_lshlrev_b32_e32 v1, 29, v2
	v_mov_b32_e32 v0, v13
	v_cmp_gt_i64_e32 vcc, 0, v[0:1]
	v_not_b32_e32 v0, v1
	v_ashrrev_i32_e32 v0, 31, v0
	v_xor_b32_e32 v1, vcc_hi, v0
	v_xor_b32_e32 v0, vcc_lo, v0
	v_and_b32_e32 v12, v12, v1
	v_and_b32_e32 v34, v34, v0
	v_lshlrev_b32_e32 v1, 28, v2
	v_mov_b32_e32 v0, v13
	v_cmp_gt_i64_e32 vcc, 0, v[0:1]
	v_not_b32_e32 v0, v1
	v_ashrrev_i32_e32 v0, 31, v0
	v_xor_b32_e32 v1, vcc_hi, v0
	v_xor_b32_e32 v0, vcc_lo, v0
	v_and_b32_e32 v12, v12, v1
	v_and_b32_e32 v34, v34, v0
	v_lshlrev_b32_e32 v1, 27, v2
	v_mov_b32_e32 v0, v13
	v_cmp_gt_i64_e32 vcc, 0, v[0:1]
	v_not_b32_e32 v0, v1
	v_ashrrev_i32_e32 v0, 31, v0
	v_xor_b32_e32 v1, vcc_hi, v0
	v_xor_b32_e32 v0, vcc_lo, v0
	v_and_b32_e32 v12, v12, v1
	v_and_b32_e32 v34, v34, v0
	v_lshlrev_b32_e32 v1, 26, v2
	v_mov_b32_e32 v0, v13
	v_cmp_gt_i64_e32 vcc, 0, v[0:1]
	v_not_b32_e32 v0, v1
	v_ashrrev_i32_e32 v0, 31, v0
	v_xor_b32_e32 v1, vcc_hi, v0
	v_xor_b32_e32 v0, vcc_lo, v0
	v_and_b32_e32 v12, v12, v1
	v_and_b32_e32 v34, v34, v0
	v_lshlrev_b32_e32 v1, 25, v2
	v_mov_b32_e32 v0, v13
	v_cmp_gt_i64_e32 vcc, 0, v[0:1]
	v_not_b32_e32 v0, v1
	v_ashrrev_i32_e32 v0, 31, v0
	v_xor_b32_e32 v1, vcc_hi, v0
	v_xor_b32_e32 v0, vcc_lo, v0
	v_and_b32_e32 v12, v12, v1
	v_and_b32_e32 v34, v34, v0
	v_lshlrev_b32_e32 v1, 24, v2
	v_mov_b32_e32 v0, v13
	v_cmp_gt_i64_e32 vcc, 0, v[0:1]
	v_not_b32_e32 v0, v1
	v_ashrrev_i32_e32 v0, 31, v0
	v_xor_b32_e32 v1, vcc_hi, v0
	v_xor_b32_e32 v0, vcc_lo, v0
	v_and_b32_e32 v0, v34, v0
	v_and_b32_e32 v1, v12, v1
	v_mbcnt_lo_u32_b32 v2, v0, 0
	v_mbcnt_hi_u32_b32 v34, v1, v2
	v_cmp_eq_u32_e32 vcc, 0, v34
	v_cmp_ne_u64_e64 s[26:27], 0, v[0:1]
	v_mov_b32_e32 v29, v41
	v_mov_b32_e32 v28, v42
	;; [unrolled: 1-line block ×4, first 2 shown]
	s_and_b64 s[44:45], s[26:27], vcc
	v_add_u32_e32 v35, v15, v3
	ds_write2_b64 v14, v[4:5], v[10:11] offset0:2 offset1:3
	s_waitcnt lgkmcnt(0)
	s_barrier
	; wave barrier
	s_and_saveexec_b64 s[26:27], s[44:45]
; %bb.20:                               ;   in Loop: Header=BB16_19 Depth=1
	v_bcnt_u32_b32 v0, v0, 0
	v_bcnt_u32_b32 v0, v1, v0
	ds_write_b32 v35, v0 offset:16
; %bb.21:                               ;   in Loop: Header=BB16_19 Depth=1
	s_or_b64 exec, exec, s[26:27]
	s_not_b32 s40, s40
	v_lshrrev_b32_e32 v0, s36, v32
	v_and_b32_e32 v2, s40, v0
	v_lshlrev_b32_e32 v0, 4, v2
	v_and_b32_e32 v12, 1, v2
	v_add_u32_e32 v37, v15, v0
	v_lshl_add_u64 v[0:1], v[12:13], 0, -1
	v_cmp_ne_u32_e32 vcc, 0, v12
	; wave barrier
	s_nop 1
	v_xor_b32_e32 v1, vcc_hi, v1
	v_xor_b32_e32 v0, vcc_lo, v0
	v_and_b32_e32 v3, exec_hi, v1
	v_and_b32_e32 v12, exec_lo, v0
	v_lshlrev_b32_e32 v1, 30, v2
	v_mov_b32_e32 v0, v13
	v_cmp_gt_i64_e32 vcc, 0, v[0:1]
	v_not_b32_e32 v0, v1
	v_ashrrev_i32_e32 v0, 31, v0
	v_xor_b32_e32 v1, vcc_hi, v0
	v_xor_b32_e32 v0, vcc_lo, v0
	v_and_b32_e32 v3, v3, v1
	v_and_b32_e32 v12, v12, v0
	v_lshlrev_b32_e32 v1, 29, v2
	v_mov_b32_e32 v0, v13
	v_cmp_gt_i64_e32 vcc, 0, v[0:1]
	v_not_b32_e32 v0, v1
	v_ashrrev_i32_e32 v0, 31, v0
	v_xor_b32_e32 v1, vcc_hi, v0
	v_xor_b32_e32 v0, vcc_lo, v0
	v_and_b32_e32 v3, v3, v1
	v_and_b32_e32 v12, v12, v0
	;; [unrolled: 9-line block ×6, first 2 shown]
	v_lshlrev_b32_e32 v1, 24, v2
	v_mov_b32_e32 v0, v13
	v_cmp_gt_i64_e32 vcc, 0, v[0:1]
	v_not_b32_e32 v0, v1
	v_ashrrev_i32_e32 v0, 31, v0
	v_xor_b32_e32 v1, vcc_hi, v0
	v_xor_b32_e32 v0, vcc_lo, v0
	ds_read_b32 v36, v37 offset:16
	v_and_b32_e32 v0, v12, v0
	v_and_b32_e32 v1, v3, v1
	v_mbcnt_lo_u32_b32 v2, v0, 0
	v_mbcnt_hi_u32_b32 v38, v1, v2
	v_cmp_eq_u32_e32 vcc, 0, v38
	v_cmp_ne_u64_e64 s[26:27], 0, v[0:1]
	s_and_b64 s[44:45], s[26:27], vcc
	; wave barrier
	s_and_saveexec_b64 s[26:27], s[44:45]
	s_cbranch_execz .LBB16_23
; %bb.22:                               ;   in Loop: Header=BB16_19 Depth=1
	v_bcnt_u32_b32 v0, v0, 0
	v_bcnt_u32_b32 v0, v1, v0
	s_waitcnt lgkmcnt(0)
	v_add_u32_e32 v0, v36, v0
	ds_write_b32 v37, v0 offset:16
.LBB16_23:                              ;   in Loop: Header=BB16_19 Depth=1
	s_or_b64 exec, exec, s[26:27]
	v_lshrrev_b32_e32 v0, s36, v31
	v_and_b32_e32 v2, s40, v0
	v_lshlrev_b32_e32 v0, 4, v2
	v_and_b32_e32 v12, 1, v2
	v_add_u32_e32 v40, v15, v0
	v_lshl_add_u64 v[0:1], v[12:13], 0, -1
	v_cmp_ne_u32_e32 vcc, 0, v12
	; wave barrier
	s_nop 1
	v_xor_b32_e32 v1, vcc_hi, v1
	v_xor_b32_e32 v0, vcc_lo, v0
	v_and_b32_e32 v3, exec_hi, v1
	v_and_b32_e32 v12, exec_lo, v0
	v_lshlrev_b32_e32 v1, 30, v2
	v_mov_b32_e32 v0, v13
	v_cmp_gt_i64_e32 vcc, 0, v[0:1]
	v_not_b32_e32 v0, v1
	v_ashrrev_i32_e32 v0, 31, v0
	v_xor_b32_e32 v1, vcc_hi, v0
	v_xor_b32_e32 v0, vcc_lo, v0
	v_and_b32_e32 v3, v3, v1
	v_and_b32_e32 v12, v12, v0
	v_lshlrev_b32_e32 v1, 29, v2
	v_mov_b32_e32 v0, v13
	v_cmp_gt_i64_e32 vcc, 0, v[0:1]
	v_not_b32_e32 v0, v1
	v_ashrrev_i32_e32 v0, 31, v0
	v_xor_b32_e32 v1, vcc_hi, v0
	v_xor_b32_e32 v0, vcc_lo, v0
	v_and_b32_e32 v3, v3, v1
	v_and_b32_e32 v12, v12, v0
	;; [unrolled: 9-line block ×6, first 2 shown]
	v_lshlrev_b32_e32 v1, 24, v2
	v_mov_b32_e32 v0, v13
	v_cmp_gt_i64_e32 vcc, 0, v[0:1]
	v_not_b32_e32 v0, v1
	v_ashrrev_i32_e32 v0, 31, v0
	v_xor_b32_e32 v1, vcc_hi, v0
	v_xor_b32_e32 v0, vcc_lo, v0
	ds_read_b32 v39, v40 offset:16
	v_and_b32_e32 v0, v12, v0
	v_and_b32_e32 v1, v3, v1
	v_mbcnt_lo_u32_b32 v2, v0, 0
	v_mbcnt_hi_u32_b32 v41, v1, v2
	v_cmp_eq_u32_e32 vcc, 0, v41
	v_cmp_ne_u64_e64 s[26:27], 0, v[0:1]
	s_and_b64 s[44:45], s[26:27], vcc
	; wave barrier
	s_and_saveexec_b64 s[26:27], s[44:45]
	s_cbranch_execz .LBB16_25
; %bb.24:                               ;   in Loop: Header=BB16_19 Depth=1
	v_bcnt_u32_b32 v0, v0, 0
	v_bcnt_u32_b32 v0, v1, v0
	s_waitcnt lgkmcnt(0)
	v_add_u32_e32 v0, v39, v0
	ds_write_b32 v40, v0 offset:16
.LBB16_25:                              ;   in Loop: Header=BB16_19 Depth=1
	s_or_b64 exec, exec, s[26:27]
	v_lshrrev_b32_e32 v0, s36, v30
	v_and_b32_e32 v2, s40, v0
	v_lshlrev_b32_e32 v0, 4, v2
	v_and_b32_e32 v12, 1, v2
	v_add_u32_e32 v43, v15, v0
	v_lshl_add_u64 v[0:1], v[12:13], 0, -1
	v_cmp_ne_u32_e32 vcc, 0, v12
	; wave barrier
	s_nop 1
	v_xor_b32_e32 v1, vcc_hi, v1
	v_xor_b32_e32 v0, vcc_lo, v0
	v_and_b32_e32 v3, exec_hi, v1
	v_and_b32_e32 v12, exec_lo, v0
	v_lshlrev_b32_e32 v1, 30, v2
	v_mov_b32_e32 v0, v13
	v_cmp_gt_i64_e32 vcc, 0, v[0:1]
	v_not_b32_e32 v0, v1
	v_ashrrev_i32_e32 v0, 31, v0
	v_xor_b32_e32 v1, vcc_hi, v0
	v_xor_b32_e32 v0, vcc_lo, v0
	v_and_b32_e32 v3, v3, v1
	v_and_b32_e32 v12, v12, v0
	v_lshlrev_b32_e32 v1, 29, v2
	v_mov_b32_e32 v0, v13
	v_cmp_gt_i64_e32 vcc, 0, v[0:1]
	v_not_b32_e32 v0, v1
	v_ashrrev_i32_e32 v0, 31, v0
	v_xor_b32_e32 v1, vcc_hi, v0
	v_xor_b32_e32 v0, vcc_lo, v0
	v_and_b32_e32 v3, v3, v1
	v_and_b32_e32 v12, v12, v0
	;; [unrolled: 9-line block ×6, first 2 shown]
	v_lshlrev_b32_e32 v1, 24, v2
	v_mov_b32_e32 v0, v13
	v_cmp_gt_i64_e32 vcc, 0, v[0:1]
	v_not_b32_e32 v0, v1
	v_ashrrev_i32_e32 v0, 31, v0
	v_xor_b32_e32 v1, vcc_hi, v0
	v_xor_b32_e32 v0, vcc_lo, v0
	ds_read_b32 v42, v43 offset:16
	v_and_b32_e32 v0, v12, v0
	v_and_b32_e32 v1, v3, v1
	v_mbcnt_lo_u32_b32 v2, v0, 0
	v_mbcnt_hi_u32_b32 v12, v1, v2
	v_cmp_eq_u32_e32 vcc, 0, v12
	v_cmp_ne_u64_e64 s[26:27], 0, v[0:1]
	s_and_b64 s[40:41], s[26:27], vcc
	; wave barrier
	s_and_saveexec_b64 s[26:27], s[40:41]
	s_cbranch_execz .LBB16_27
; %bb.26:                               ;   in Loop: Header=BB16_19 Depth=1
	v_bcnt_u32_b32 v0, v0, 0
	v_bcnt_u32_b32 v0, v1, v0
	s_waitcnt lgkmcnt(0)
	v_add_u32_e32 v0, v42, v0
	ds_write_b32 v43, v0 offset:16
.LBB16_27:                              ;   in Loop: Header=BB16_19 Depth=1
	s_or_b64 exec, exec, s[26:27]
	; wave barrier
	s_waitcnt lgkmcnt(0)
	s_barrier
	ds_read2_b64 v[0:3], v14 offset0:2 offset1:3
	s_waitcnt lgkmcnt(0)
	v_add_u32_e32 v44, v1, v0
	v_add3_u32 v3, v44, v2, v3
	s_nop 1
	v_mov_b32_dpp v44, v3 row_shr:1 row_mask:0xf bank_mask:0xf
	v_cndmask_b32_e64 v44, v44, 0, s[0:1]
	v_add_u32_e32 v3, v44, v3
	s_nop 1
	v_mov_b32_dpp v44, v3 row_shr:2 row_mask:0xf bank_mask:0xf
	v_cndmask_b32_e64 v44, 0, v44, s[2:3]
	v_add_u32_e32 v3, v3, v44
	;; [unrolled: 4-line block ×4, first 2 shown]
	s_nop 1
	v_mov_b32_dpp v44, v3 row_bcast:15 row_mask:0xf bank_mask:0xf
	v_cndmask_b32_e64 v44, v44, 0, s[8:9]
	v_add_u32_e32 v3, v3, v44
	s_nop 1
	v_mov_b32_dpp v44, v3 row_bcast:31 row_mask:0xf bank_mask:0xf
	v_cndmask_b32_e64 v44, 0, v44, s[10:11]
	v_add_u32_e32 v3, v3, v44
	s_and_saveexec_b64 s[26:27], s[12:13]
; %bb.28:                               ;   in Loop: Header=BB16_19 Depth=1
	ds_write_b32 v20, v3
; %bb.29:                               ;   in Loop: Header=BB16_19 Depth=1
	s_or_b64 exec, exec, s[26:27]
	s_waitcnt lgkmcnt(0)
	s_barrier
	s_and_saveexec_b64 s[26:27], s[14:15]
	s_cbranch_execz .LBB16_31
; %bb.30:                               ;   in Loop: Header=BB16_19 Depth=1
	v_add_u32_e32 v44, v14, v18
	ds_read_b32 v45, v44
	s_waitcnt lgkmcnt(0)
	s_nop 0
	v_mov_b32_dpp v46, v45 row_shr:1 row_mask:0xf bank_mask:0xf
	v_cndmask_b32_e64 v46, v46, 0, s[22:23]
	v_add_u32_e32 v45, v46, v45
	s_nop 1
	v_mov_b32_dpp v46, v45 row_shr:2 row_mask:0xf bank_mask:0xf
	v_cndmask_b32_e64 v46, 0, v46, s[24:25]
	v_add_u32_e32 v45, v45, v46
	ds_write_b32 v44, v45
.LBB16_31:                              ;   in Loop: Header=BB16_19 Depth=1
	s_or_b64 exec, exec, s[26:27]
	v_mov_b32_e32 v44, 0
	s_waitcnt lgkmcnt(0)
	s_barrier
	s_and_saveexec_b64 s[26:27], s[16:17]
; %bb.32:                               ;   in Loop: Header=BB16_19 Depth=1
	ds_read_b32 v44, v21
; %bb.33:                               ;   in Loop: Header=BB16_19 Depth=1
	s_or_b64 exec, exec, s[26:27]
	s_waitcnt lgkmcnt(0)
	v_add_u32_e32 v3, v44, v3
	ds_bpermute_b32 v3, v19, v3
	s_add_i32 s36, s36, 8
	s_cmp_ge_u32 s36, s33
	s_mov_b64 s[26:27], -1
	s_waitcnt lgkmcnt(0)
	v_cndmask_b32_e64 v3, v3, v44, s[18:19]
	v_cndmask_b32_e64 v44, v3, 0, s[20:21]
	v_add_u32_e32 v45, v44, v0
	v_add_u32_e32 v0, v45, v1
	;; [unrolled: 1-line block ×3, first 2 shown]
	ds_write2_b64 v14, v[44:45], v[0:1] offset0:2 offset1:3
	s_waitcnt lgkmcnt(0)
	s_barrier
	ds_read_b32 v0, v35 offset:16
	ds_read_b32 v1, v37 offset:16
	;; [unrolled: 1-line block ×4, first 2 shown]
	s_waitcnt lgkmcnt(0)
	v_add_u32_e32 v0, v0, v34
	v_add3_u32 v34, v38, v36, v1
	v_add3_u32 v35, v41, v39, v2
	;; [unrolled: 1-line block ×3, first 2 shown]
	v_lshlrev_b32_e32 v37, 2, v0
	v_lshlrev_b32_e32 v38, 2, v34
	;; [unrolled: 1-line block ×4, first 2 shown]
	v_readfirstlane_b32 s40, v0
                                        ; implicit-def: $vgpr12
                                        ; implicit-def: $vgpr3
                                        ; implicit-def: $vgpr2
                                        ; implicit-def: $vgpr1
                                        ; implicit-def: $vgpr41
                                        ; implicit-def: $vgpr42
                                        ; implicit-def: $vgpr43
                                        ; implicit-def: $vgpr44
	s_cbranch_scc1 .LBB16_18
; %bb.34:                               ;   in Loop: Header=BB16_19 Depth=1
	s_barrier
	ds_write_b32 v37, v33
	ds_write_b32 v38, v32
	;; [unrolled: 1-line block ×4, first 2 shown]
	s_waitcnt lgkmcnt(0)
	s_barrier
	ds_read_b32 v1, v22
	ds_read_b32 v2, v23
	;; [unrolled: 1-line block ×4, first 2 shown]
	s_waitcnt lgkmcnt(0)
	s_barrier
	ds_write_b8 v0, v29
	ds_write_b8 v34, v28
	;; [unrolled: 1-line block ×4, first 2 shown]
	s_waitcnt lgkmcnt(0)
	s_barrier
	ds_read_u8 v41, v17
	ds_read_u8 v42, v7
	;; [unrolled: 1-line block ×4, first 2 shown]
	s_add_i32 s40, s37, -8
	s_mov_b64 s[26:27], 0
	s_waitcnt lgkmcnt(0)
	s_barrier
	s_branch .LBB16_18
.LBB16_35:
	v_add_u32_e32 v1, v14, v18
	s_barrier
	ds_write_b32 v37, v33
	ds_write_b32 v38, v32
	;; [unrolled: 1-line block ×4, first 2 shown]
	s_waitcnt lgkmcnt(0)
	s_barrier
	ds_read2st64_b32 v[10:11], v1 offset1:4
	ds_read2st64_b32 v[14:15], v1 offset0:8 offset1:12
	s_waitcnt lgkmcnt(0)
	s_barrier
	ds_write_b8 v0, v29
	ds_write_b8 v34, v28
	;; [unrolled: 1-line block ×4, first 2 shown]
	s_waitcnt lgkmcnt(0)
	s_barrier
	ds_read_u8 v5, v6
	ds_read_u8 v4, v6 offset:256
	ds_read_u8 v3, v6 offset:512
	;; [unrolled: 1-line block ×3, first 2 shown]
	s_add_u32 s0, s38, s34
	v_mov_b32_e32 v7, 0
	s_addc_u32 s1, s39, s35
	v_mov_b32_e32 v9, v7
	v_xor_b32_e32 v13, 0x80000000, v10
	v_xor_b32_e32 v12, 0x80000000, v11
	;; [unrolled: 1-line block ×4, first 2 shown]
	s_andn2_b64 vcc, exec, s[30:31]
	v_lshl_add_u64 v[0:1], s[0:1], 0, v[8:9]
	s_cbranch_vccnz .LBB16_37
; %bb.36:
	s_add_u32 s0, s42, s28
	s_addc_u32 s1, s43, 0
	v_lshl_add_u64 v[8:9], s[0:1], 0, v[6:7]
	s_mov_b64 s[4:5], -1
	global_store_dword v[0:1], v13, off
	global_store_dword v[0:1], v12, off offset:1024
	global_store_dword v[0:1], v11, off offset:2048
	;; [unrolled: 1-line block ×3, first 2 shown]
	s_waitcnt lgkmcnt(3)
	global_store_byte v[8:9], v5, off
	s_waitcnt lgkmcnt(2)
	global_store_byte v[8:9], v4, off offset:256
	s_waitcnt lgkmcnt(1)
	global_store_byte v[8:9], v3, off offset:512
	s_cbranch_execz .LBB16_38
	s_branch .LBB16_51
.LBB16_37:
	s_mov_b64 s[4:5], 0
.LBB16_38:
	v_cmp_gt_u32_e32 vcc, s29, v6
	s_and_saveexec_b64 s[0:1], vcc
	s_cbranch_execz .LBB16_40
; %bb.39:
	global_store_dword v[0:1], v13, off
.LBB16_40:
	s_or_b64 exec, exec, s[0:1]
	v_add_u32_e32 v8, 0x100, v6
	v_cmp_gt_u32_e64 s[0:1], s29, v8
	s_and_saveexec_b64 s[2:3], s[0:1]
	s_cbranch_execz .LBB16_42
; %bb.41:
	global_store_dword v[0:1], v12, off offset:1024
.LBB16_42:
	s_or_b64 exec, exec, s[2:3]
	v_add_u32_e32 v8, 0x200, v6
	v_cmp_gt_u32_e64 s[2:3], s29, v8
	s_and_saveexec_b64 s[4:5], s[2:3]
	s_cbranch_execz .LBB16_44
; %bb.43:
	global_store_dword v[0:1], v11, off offset:2048
.LBB16_44:
	;; [unrolled: 8-line block ×3, first 2 shown]
	s_or_b64 exec, exec, s[6:7]
	s_add_u32 s6, s42, s28
	s_addc_u32 s7, s43, 0
	v_lshl_add_u64 v[0:1], s[6:7], 0, v[6:7]
	s_and_saveexec_b64 s[6:7], vcc
	s_cbranch_execnz .LBB16_57
; %bb.47:
	s_or_b64 exec, exec, s[6:7]
	s_and_saveexec_b64 s[6:7], s[0:1]
	s_cbranch_execnz .LBB16_58
.LBB16_48:
	s_or_b64 exec, exec, s[6:7]
	s_and_saveexec_b64 s[0:1], s[2:3]
	s_cbranch_execz .LBB16_50
.LBB16_49:
	s_waitcnt lgkmcnt(1)
	global_store_byte v[0:1], v3, off offset:512
.LBB16_50:
	s_or_b64 exec, exec, s[0:1]
.LBB16_51:
	s_and_saveexec_b64 s[0:1], s[4:5]
	s_cbranch_execnz .LBB16_53
; %bb.52:
	s_endpgm
.LBB16_53:
	s_add_u32 s0, s42, s28
	s_addc_u32 s1, s43, 0
	v_lshl_add_u64 v[0:1], s[0:1], 0, v[6:7]
	s_waitcnt lgkmcnt(0)
	global_store_byte v[0:1], v2, off offset:768
	s_endpgm
.LBB16_54:
	global_load_ubyte v41, v[12:13], off
	s_or_b64 exec, exec, s[8:9]
                                        ; implicit-def: $vgpr42
	s_and_saveexec_b64 s[8:9], s[2:3]
	s_cbranch_execz .LBB16_13
.LBB16_55:
	global_load_ubyte v42, v[12:13], off offset:64
	s_or_b64 exec, exec, s[8:9]
                                        ; implicit-def: $vgpr43
	s_and_saveexec_b64 s[2:3], s[4:5]
	s_cbranch_execz .LBB16_14
.LBB16_56:
	global_load_ubyte v43, v[12:13], off offset:128
	s_or_b64 exec, exec, s[2:3]
                                        ; implicit-def: $vgpr44
	s_and_saveexec_b64 s[2:3], s[6:7]
	s_cbranch_execnz .LBB16_15
	s_branch .LBB16_16
.LBB16_57:
	s_waitcnt lgkmcnt(3)
	global_store_byte v[0:1], v5, off
	s_or_b64 exec, exec, s[6:7]
	s_and_saveexec_b64 s[6:7], s[0:1]
	s_cbranch_execz .LBB16_48
.LBB16_58:
	s_waitcnt lgkmcnt(2)
	global_store_byte v[0:1], v4, off offset:256
	s_or_b64 exec, exec, s[6:7]
	s_and_saveexec_b64 s[0:1], s[2:3]
	s_cbranch_execnz .LBB16_49
	s_branch .LBB16_50
	.section	.rodata,"a",@progbits
	.p2align	6, 0x0
	.amdhsa_kernel _ZN7rocprim17ROCPRIM_304000_NS6detail28radix_sort_block_sort_kernelINS1_36wrapped_radix_sort_block_sort_configINS0_13kernel_configILj256ELj4ELj4294967295EEEiN2at4cuda3cub6detail10OpaqueTypeILi1EEEEELb0EPKiPiPKSB_PSB_NS0_19identity_decomposerEEEvT1_T2_T3_T4_jT5_jj
		.amdhsa_group_segment_fixed_size 4112
		.amdhsa_private_segment_fixed_size 0
		.amdhsa_kernarg_size 304
		.amdhsa_user_sgpr_count 2
		.amdhsa_user_sgpr_dispatch_ptr 0
		.amdhsa_user_sgpr_queue_ptr 0
		.amdhsa_user_sgpr_kernarg_segment_ptr 1
		.amdhsa_user_sgpr_dispatch_id 0
		.amdhsa_user_sgpr_kernarg_preload_length 0
		.amdhsa_user_sgpr_kernarg_preload_offset 0
		.amdhsa_user_sgpr_private_segment_size 0
		.amdhsa_uses_dynamic_stack 0
		.amdhsa_enable_private_segment 0
		.amdhsa_system_sgpr_workgroup_id_x 1
		.amdhsa_system_sgpr_workgroup_id_y 0
		.amdhsa_system_sgpr_workgroup_id_z 0
		.amdhsa_system_sgpr_workgroup_info 0
		.amdhsa_system_vgpr_workitem_id 2
		.amdhsa_next_free_vgpr 47
		.amdhsa_next_free_sgpr 46
		.amdhsa_accum_offset 48
		.amdhsa_reserve_vcc 1
		.amdhsa_float_round_mode_32 0
		.amdhsa_float_round_mode_16_64 0
		.amdhsa_float_denorm_mode_32 3
		.amdhsa_float_denorm_mode_16_64 3
		.amdhsa_dx10_clamp 1
		.amdhsa_ieee_mode 1
		.amdhsa_fp16_overflow 0
		.amdhsa_tg_split 0
		.amdhsa_exception_fp_ieee_invalid_op 0
		.amdhsa_exception_fp_denorm_src 0
		.amdhsa_exception_fp_ieee_div_zero 0
		.amdhsa_exception_fp_ieee_overflow 0
		.amdhsa_exception_fp_ieee_underflow 0
		.amdhsa_exception_fp_ieee_inexact 0
		.amdhsa_exception_int_div_zero 0
	.end_amdhsa_kernel
	.section	.text._ZN7rocprim17ROCPRIM_304000_NS6detail28radix_sort_block_sort_kernelINS1_36wrapped_radix_sort_block_sort_configINS0_13kernel_configILj256ELj4ELj4294967295EEEiN2at4cuda3cub6detail10OpaqueTypeILi1EEEEELb0EPKiPiPKSB_PSB_NS0_19identity_decomposerEEEvT1_T2_T3_T4_jT5_jj,"axG",@progbits,_ZN7rocprim17ROCPRIM_304000_NS6detail28radix_sort_block_sort_kernelINS1_36wrapped_radix_sort_block_sort_configINS0_13kernel_configILj256ELj4ELj4294967295EEEiN2at4cuda3cub6detail10OpaqueTypeILi1EEEEELb0EPKiPiPKSB_PSB_NS0_19identity_decomposerEEEvT1_T2_T3_T4_jT5_jj,comdat
.Lfunc_end16:
	.size	_ZN7rocprim17ROCPRIM_304000_NS6detail28radix_sort_block_sort_kernelINS1_36wrapped_radix_sort_block_sort_configINS0_13kernel_configILj256ELj4ELj4294967295EEEiN2at4cuda3cub6detail10OpaqueTypeILi1EEEEELb0EPKiPiPKSB_PSB_NS0_19identity_decomposerEEEvT1_T2_T3_T4_jT5_jj, .Lfunc_end16-_ZN7rocprim17ROCPRIM_304000_NS6detail28radix_sort_block_sort_kernelINS1_36wrapped_radix_sort_block_sort_configINS0_13kernel_configILj256ELj4ELj4294967295EEEiN2at4cuda3cub6detail10OpaqueTypeILi1EEEEELb0EPKiPiPKSB_PSB_NS0_19identity_decomposerEEEvT1_T2_T3_T4_jT5_jj
                                        ; -- End function
	.set _ZN7rocprim17ROCPRIM_304000_NS6detail28radix_sort_block_sort_kernelINS1_36wrapped_radix_sort_block_sort_configINS0_13kernel_configILj256ELj4ELj4294967295EEEiN2at4cuda3cub6detail10OpaqueTypeILi1EEEEELb0EPKiPiPKSB_PSB_NS0_19identity_decomposerEEEvT1_T2_T3_T4_jT5_jj.num_vgpr, 47
	.set _ZN7rocprim17ROCPRIM_304000_NS6detail28radix_sort_block_sort_kernelINS1_36wrapped_radix_sort_block_sort_configINS0_13kernel_configILj256ELj4ELj4294967295EEEiN2at4cuda3cub6detail10OpaqueTypeILi1EEEEELb0EPKiPiPKSB_PSB_NS0_19identity_decomposerEEEvT1_T2_T3_T4_jT5_jj.num_agpr, 0
	.set _ZN7rocprim17ROCPRIM_304000_NS6detail28radix_sort_block_sort_kernelINS1_36wrapped_radix_sort_block_sort_configINS0_13kernel_configILj256ELj4ELj4294967295EEEiN2at4cuda3cub6detail10OpaqueTypeILi1EEEEELb0EPKiPiPKSB_PSB_NS0_19identity_decomposerEEEvT1_T2_T3_T4_jT5_jj.numbered_sgpr, 46
	.set _ZN7rocprim17ROCPRIM_304000_NS6detail28radix_sort_block_sort_kernelINS1_36wrapped_radix_sort_block_sort_configINS0_13kernel_configILj256ELj4ELj4294967295EEEiN2at4cuda3cub6detail10OpaqueTypeILi1EEEEELb0EPKiPiPKSB_PSB_NS0_19identity_decomposerEEEvT1_T2_T3_T4_jT5_jj.num_named_barrier, 0
	.set _ZN7rocprim17ROCPRIM_304000_NS6detail28radix_sort_block_sort_kernelINS1_36wrapped_radix_sort_block_sort_configINS0_13kernel_configILj256ELj4ELj4294967295EEEiN2at4cuda3cub6detail10OpaqueTypeILi1EEEEELb0EPKiPiPKSB_PSB_NS0_19identity_decomposerEEEvT1_T2_T3_T4_jT5_jj.private_seg_size, 0
	.set _ZN7rocprim17ROCPRIM_304000_NS6detail28radix_sort_block_sort_kernelINS1_36wrapped_radix_sort_block_sort_configINS0_13kernel_configILj256ELj4ELj4294967295EEEiN2at4cuda3cub6detail10OpaqueTypeILi1EEEEELb0EPKiPiPKSB_PSB_NS0_19identity_decomposerEEEvT1_T2_T3_T4_jT5_jj.uses_vcc, 1
	.set _ZN7rocprim17ROCPRIM_304000_NS6detail28radix_sort_block_sort_kernelINS1_36wrapped_radix_sort_block_sort_configINS0_13kernel_configILj256ELj4ELj4294967295EEEiN2at4cuda3cub6detail10OpaqueTypeILi1EEEEELb0EPKiPiPKSB_PSB_NS0_19identity_decomposerEEEvT1_T2_T3_T4_jT5_jj.uses_flat_scratch, 0
	.set _ZN7rocprim17ROCPRIM_304000_NS6detail28radix_sort_block_sort_kernelINS1_36wrapped_radix_sort_block_sort_configINS0_13kernel_configILj256ELj4ELj4294967295EEEiN2at4cuda3cub6detail10OpaqueTypeILi1EEEEELb0EPKiPiPKSB_PSB_NS0_19identity_decomposerEEEvT1_T2_T3_T4_jT5_jj.has_dyn_sized_stack, 0
	.set _ZN7rocprim17ROCPRIM_304000_NS6detail28radix_sort_block_sort_kernelINS1_36wrapped_radix_sort_block_sort_configINS0_13kernel_configILj256ELj4ELj4294967295EEEiN2at4cuda3cub6detail10OpaqueTypeILi1EEEEELb0EPKiPiPKSB_PSB_NS0_19identity_decomposerEEEvT1_T2_T3_T4_jT5_jj.has_recursion, 0
	.set _ZN7rocprim17ROCPRIM_304000_NS6detail28radix_sort_block_sort_kernelINS1_36wrapped_radix_sort_block_sort_configINS0_13kernel_configILj256ELj4ELj4294967295EEEiN2at4cuda3cub6detail10OpaqueTypeILi1EEEEELb0EPKiPiPKSB_PSB_NS0_19identity_decomposerEEEvT1_T2_T3_T4_jT5_jj.has_indirect_call, 0
	.section	.AMDGPU.csdata,"",@progbits
; Kernel info:
; codeLenInByte = 3796
; TotalNumSgprs: 52
; NumVgprs: 47
; NumAgprs: 0
; TotalNumVgprs: 47
; ScratchSize: 0
; MemoryBound: 0
; FloatMode: 240
; IeeeMode: 1
; LDSByteSize: 4112 bytes/workgroup (compile time only)
; SGPRBlocks: 6
; VGPRBlocks: 5
; NumSGPRsForWavesPerEU: 52
; NumVGPRsForWavesPerEU: 47
; AccumOffset: 48
; Occupancy: 8
; WaveLimiterHint : 1
; COMPUTE_PGM_RSRC2:SCRATCH_EN: 0
; COMPUTE_PGM_RSRC2:USER_SGPR: 2
; COMPUTE_PGM_RSRC2:TRAP_HANDLER: 0
; COMPUTE_PGM_RSRC2:TGID_X_EN: 1
; COMPUTE_PGM_RSRC2:TGID_Y_EN: 0
; COMPUTE_PGM_RSRC2:TGID_Z_EN: 0
; COMPUTE_PGM_RSRC2:TIDIG_COMP_CNT: 2
; COMPUTE_PGM_RSRC3_GFX90A:ACCUM_OFFSET: 11
; COMPUTE_PGM_RSRC3_GFX90A:TG_SPLIT: 0
	.section	.text._ZN7rocprim17ROCPRIM_304000_NS6detail45device_block_merge_mergepath_partition_kernelINS1_37wrapped_merge_sort_block_merge_configINS0_14default_configEiN2at4cuda3cub6detail10OpaqueTypeILi1EEEEEPijNS1_19radix_merge_compareILb0ELb0EiNS0_19identity_decomposerEEEEEvT0_T1_jPSH_T2_SH_,"axG",@progbits,_ZN7rocprim17ROCPRIM_304000_NS6detail45device_block_merge_mergepath_partition_kernelINS1_37wrapped_merge_sort_block_merge_configINS0_14default_configEiN2at4cuda3cub6detail10OpaqueTypeILi1EEEEEPijNS1_19radix_merge_compareILb0ELb0EiNS0_19identity_decomposerEEEEEvT0_T1_jPSH_T2_SH_,comdat
	.protected	_ZN7rocprim17ROCPRIM_304000_NS6detail45device_block_merge_mergepath_partition_kernelINS1_37wrapped_merge_sort_block_merge_configINS0_14default_configEiN2at4cuda3cub6detail10OpaqueTypeILi1EEEEEPijNS1_19radix_merge_compareILb0ELb0EiNS0_19identity_decomposerEEEEEvT0_T1_jPSH_T2_SH_ ; -- Begin function _ZN7rocprim17ROCPRIM_304000_NS6detail45device_block_merge_mergepath_partition_kernelINS1_37wrapped_merge_sort_block_merge_configINS0_14default_configEiN2at4cuda3cub6detail10OpaqueTypeILi1EEEEEPijNS1_19radix_merge_compareILb0ELb0EiNS0_19identity_decomposerEEEEEvT0_T1_jPSH_T2_SH_
	.globl	_ZN7rocprim17ROCPRIM_304000_NS6detail45device_block_merge_mergepath_partition_kernelINS1_37wrapped_merge_sort_block_merge_configINS0_14default_configEiN2at4cuda3cub6detail10OpaqueTypeILi1EEEEEPijNS1_19radix_merge_compareILb0ELb0EiNS0_19identity_decomposerEEEEEvT0_T1_jPSH_T2_SH_
	.p2align	8
	.type	_ZN7rocprim17ROCPRIM_304000_NS6detail45device_block_merge_mergepath_partition_kernelINS1_37wrapped_merge_sort_block_merge_configINS0_14default_configEiN2at4cuda3cub6detail10OpaqueTypeILi1EEEEEPijNS1_19radix_merge_compareILb0ELb0EiNS0_19identity_decomposerEEEEEvT0_T1_jPSH_T2_SH_,@function
_ZN7rocprim17ROCPRIM_304000_NS6detail45device_block_merge_mergepath_partition_kernelINS1_37wrapped_merge_sort_block_merge_configINS0_14default_configEiN2at4cuda3cub6detail10OpaqueTypeILi1EEEEEPijNS1_19radix_merge_compareILb0ELb0EiNS0_19identity_decomposerEEEEEvT0_T1_jPSH_T2_SH_: ; @_ZN7rocprim17ROCPRIM_304000_NS6detail45device_block_merge_mergepath_partition_kernelINS1_37wrapped_merge_sort_block_merge_configINS0_14default_configEiN2at4cuda3cub6detail10OpaqueTypeILi1EEEEEPijNS1_19radix_merge_compareILb0ELb0EiNS0_19identity_decomposerEEEEEvT0_T1_jPSH_T2_SH_
; %bb.0:
	s_load_dwordx2 s[4:5], s[0:1], 0x8
	v_lshl_or_b32 v0, s2, 7, v0
	s_waitcnt lgkmcnt(0)
	v_cmp_gt_u32_e32 vcc, s5, v0
	s_and_saveexec_b64 s[2:3], vcc
	s_cbranch_execz .LBB17_6
; %bb.1:
	s_load_dword s2, s[0:1], 0x1c
	s_waitcnt lgkmcnt(0)
	s_lshr_b32 s3, s2, 9
	s_and_b32 s3, s3, 0x7ffffe
	s_add_i32 s5, s3, -1
	s_sub_i32 s3, 0, s3
	v_and_b32_e32 v1, s3, v0
	v_and_b32_e32 v2, s5, v0
	v_lshlrev_b32_e32 v1, 10, v1
	v_lshlrev_b32_e32 v3, 10, v2
	v_min_u32_e32 v2, s4, v1
	v_add_u32_e32 v1, s2, v1
	v_min_u32_e32 v4, s4, v1
	v_add_u32_e32 v1, s2, v4
	v_min_u32_e32 v1, s4, v1
	v_sub_u32_e32 v5, v1, v2
	v_min_u32_e32 v10, v5, v3
	v_sub_u32_e32 v3, v4, v2
	v_sub_u32_e32 v1, v1, v4
	v_sub_u32_e64 v1, v10, v1 clamp
	v_min_u32_e32 v11, v10, v3
	v_cmp_lt_u32_e32 vcc, v1, v11
	s_and_saveexec_b64 s[2:3], vcc
	s_cbranch_execz .LBB17_5
; %bb.2:
	s_load_dwordx2 s[4:5], s[0:1], 0x0
	v_mov_b32_e32 v5, 0
	v_mov_b32_e32 v3, v5
	s_waitcnt lgkmcnt(0)
	v_lshl_add_u64 v[6:7], v[2:3], 2, s[4:5]
	v_lshl_add_u64 v[8:9], v[4:5], 2, s[4:5]
	s_mov_b64 s[4:5], 0
.LBB17_3:                               ; =>This Inner Loop Header: Depth=1
	v_add_u32_e32 v3, v11, v1
	v_lshrrev_b32_e32 v4, 1, v3
	v_mov_b32_e32 v13, v5
	v_xad_u32 v12, v4, -1, v10
	v_lshl_add_u64 v[14:15], v[4:5], 2, v[6:7]
	v_lshl_add_u64 v[12:13], v[12:13], 2, v[8:9]
	global_load_dword v3, v[14:15], off
	global_load_dword v16, v[12:13], off
	v_add_u32_e32 v12, 1, v4
	s_waitcnt vmcnt(0)
	v_cmp_gt_i32_e32 vcc, v3, v16
	s_nop 1
	v_cndmask_b32_e32 v11, v11, v4, vcc
	v_cndmask_b32_e32 v1, v12, v1, vcc
	v_cmp_ge_u32_e32 vcc, v1, v11
	s_or_b64 s[4:5], vcc, s[4:5]
	s_andn2_b64 exec, exec, s[4:5]
	s_cbranch_execnz .LBB17_3
; %bb.4:
	s_or_b64 exec, exec, s[4:5]
.LBB17_5:
	s_or_b64 exec, exec, s[2:3]
	s_load_dwordx2 s[0:1], s[0:1], 0x10
	v_add_u32_e32 v2, v1, v2
	v_mov_b32_e32 v1, 0
	s_waitcnt lgkmcnt(0)
	v_lshl_add_u64 v[0:1], v[0:1], 2, s[0:1]
	global_store_dword v[0:1], v2, off
.LBB17_6:
	s_endpgm
	.section	.rodata,"a",@progbits
	.p2align	6, 0x0
	.amdhsa_kernel _ZN7rocprim17ROCPRIM_304000_NS6detail45device_block_merge_mergepath_partition_kernelINS1_37wrapped_merge_sort_block_merge_configINS0_14default_configEiN2at4cuda3cub6detail10OpaqueTypeILi1EEEEEPijNS1_19radix_merge_compareILb0ELb0EiNS0_19identity_decomposerEEEEEvT0_T1_jPSH_T2_SH_
		.amdhsa_group_segment_fixed_size 0
		.amdhsa_private_segment_fixed_size 0
		.amdhsa_kernarg_size 32
		.amdhsa_user_sgpr_count 2
		.amdhsa_user_sgpr_dispatch_ptr 0
		.amdhsa_user_sgpr_queue_ptr 0
		.amdhsa_user_sgpr_kernarg_segment_ptr 1
		.amdhsa_user_sgpr_dispatch_id 0
		.amdhsa_user_sgpr_kernarg_preload_length 0
		.amdhsa_user_sgpr_kernarg_preload_offset 0
		.amdhsa_user_sgpr_private_segment_size 0
		.amdhsa_uses_dynamic_stack 0
		.amdhsa_enable_private_segment 0
		.amdhsa_system_sgpr_workgroup_id_x 1
		.amdhsa_system_sgpr_workgroup_id_y 0
		.amdhsa_system_sgpr_workgroup_id_z 0
		.amdhsa_system_sgpr_workgroup_info 0
		.amdhsa_system_vgpr_workitem_id 0
		.amdhsa_next_free_vgpr 17
		.amdhsa_next_free_sgpr 6
		.amdhsa_accum_offset 20
		.amdhsa_reserve_vcc 1
		.amdhsa_float_round_mode_32 0
		.amdhsa_float_round_mode_16_64 0
		.amdhsa_float_denorm_mode_32 3
		.amdhsa_float_denorm_mode_16_64 3
		.amdhsa_dx10_clamp 1
		.amdhsa_ieee_mode 1
		.amdhsa_fp16_overflow 0
		.amdhsa_tg_split 0
		.amdhsa_exception_fp_ieee_invalid_op 0
		.amdhsa_exception_fp_denorm_src 0
		.amdhsa_exception_fp_ieee_div_zero 0
		.amdhsa_exception_fp_ieee_overflow 0
		.amdhsa_exception_fp_ieee_underflow 0
		.amdhsa_exception_fp_ieee_inexact 0
		.amdhsa_exception_int_div_zero 0
	.end_amdhsa_kernel
	.section	.text._ZN7rocprim17ROCPRIM_304000_NS6detail45device_block_merge_mergepath_partition_kernelINS1_37wrapped_merge_sort_block_merge_configINS0_14default_configEiN2at4cuda3cub6detail10OpaqueTypeILi1EEEEEPijNS1_19radix_merge_compareILb0ELb0EiNS0_19identity_decomposerEEEEEvT0_T1_jPSH_T2_SH_,"axG",@progbits,_ZN7rocprim17ROCPRIM_304000_NS6detail45device_block_merge_mergepath_partition_kernelINS1_37wrapped_merge_sort_block_merge_configINS0_14default_configEiN2at4cuda3cub6detail10OpaqueTypeILi1EEEEEPijNS1_19radix_merge_compareILb0ELb0EiNS0_19identity_decomposerEEEEEvT0_T1_jPSH_T2_SH_,comdat
.Lfunc_end17:
	.size	_ZN7rocprim17ROCPRIM_304000_NS6detail45device_block_merge_mergepath_partition_kernelINS1_37wrapped_merge_sort_block_merge_configINS0_14default_configEiN2at4cuda3cub6detail10OpaqueTypeILi1EEEEEPijNS1_19radix_merge_compareILb0ELb0EiNS0_19identity_decomposerEEEEEvT0_T1_jPSH_T2_SH_, .Lfunc_end17-_ZN7rocprim17ROCPRIM_304000_NS6detail45device_block_merge_mergepath_partition_kernelINS1_37wrapped_merge_sort_block_merge_configINS0_14default_configEiN2at4cuda3cub6detail10OpaqueTypeILi1EEEEEPijNS1_19radix_merge_compareILb0ELb0EiNS0_19identity_decomposerEEEEEvT0_T1_jPSH_T2_SH_
                                        ; -- End function
	.set _ZN7rocprim17ROCPRIM_304000_NS6detail45device_block_merge_mergepath_partition_kernelINS1_37wrapped_merge_sort_block_merge_configINS0_14default_configEiN2at4cuda3cub6detail10OpaqueTypeILi1EEEEEPijNS1_19radix_merge_compareILb0ELb0EiNS0_19identity_decomposerEEEEEvT0_T1_jPSH_T2_SH_.num_vgpr, 17
	.set _ZN7rocprim17ROCPRIM_304000_NS6detail45device_block_merge_mergepath_partition_kernelINS1_37wrapped_merge_sort_block_merge_configINS0_14default_configEiN2at4cuda3cub6detail10OpaqueTypeILi1EEEEEPijNS1_19radix_merge_compareILb0ELb0EiNS0_19identity_decomposerEEEEEvT0_T1_jPSH_T2_SH_.num_agpr, 0
	.set _ZN7rocprim17ROCPRIM_304000_NS6detail45device_block_merge_mergepath_partition_kernelINS1_37wrapped_merge_sort_block_merge_configINS0_14default_configEiN2at4cuda3cub6detail10OpaqueTypeILi1EEEEEPijNS1_19radix_merge_compareILb0ELb0EiNS0_19identity_decomposerEEEEEvT0_T1_jPSH_T2_SH_.numbered_sgpr, 6
	.set _ZN7rocprim17ROCPRIM_304000_NS6detail45device_block_merge_mergepath_partition_kernelINS1_37wrapped_merge_sort_block_merge_configINS0_14default_configEiN2at4cuda3cub6detail10OpaqueTypeILi1EEEEEPijNS1_19radix_merge_compareILb0ELb0EiNS0_19identity_decomposerEEEEEvT0_T1_jPSH_T2_SH_.num_named_barrier, 0
	.set _ZN7rocprim17ROCPRIM_304000_NS6detail45device_block_merge_mergepath_partition_kernelINS1_37wrapped_merge_sort_block_merge_configINS0_14default_configEiN2at4cuda3cub6detail10OpaqueTypeILi1EEEEEPijNS1_19radix_merge_compareILb0ELb0EiNS0_19identity_decomposerEEEEEvT0_T1_jPSH_T2_SH_.private_seg_size, 0
	.set _ZN7rocprim17ROCPRIM_304000_NS6detail45device_block_merge_mergepath_partition_kernelINS1_37wrapped_merge_sort_block_merge_configINS0_14default_configEiN2at4cuda3cub6detail10OpaqueTypeILi1EEEEEPijNS1_19radix_merge_compareILb0ELb0EiNS0_19identity_decomposerEEEEEvT0_T1_jPSH_T2_SH_.uses_vcc, 1
	.set _ZN7rocprim17ROCPRIM_304000_NS6detail45device_block_merge_mergepath_partition_kernelINS1_37wrapped_merge_sort_block_merge_configINS0_14default_configEiN2at4cuda3cub6detail10OpaqueTypeILi1EEEEEPijNS1_19radix_merge_compareILb0ELb0EiNS0_19identity_decomposerEEEEEvT0_T1_jPSH_T2_SH_.uses_flat_scratch, 0
	.set _ZN7rocprim17ROCPRIM_304000_NS6detail45device_block_merge_mergepath_partition_kernelINS1_37wrapped_merge_sort_block_merge_configINS0_14default_configEiN2at4cuda3cub6detail10OpaqueTypeILi1EEEEEPijNS1_19radix_merge_compareILb0ELb0EiNS0_19identity_decomposerEEEEEvT0_T1_jPSH_T2_SH_.has_dyn_sized_stack, 0
	.set _ZN7rocprim17ROCPRIM_304000_NS6detail45device_block_merge_mergepath_partition_kernelINS1_37wrapped_merge_sort_block_merge_configINS0_14default_configEiN2at4cuda3cub6detail10OpaqueTypeILi1EEEEEPijNS1_19radix_merge_compareILb0ELb0EiNS0_19identity_decomposerEEEEEvT0_T1_jPSH_T2_SH_.has_recursion, 0
	.set _ZN7rocprim17ROCPRIM_304000_NS6detail45device_block_merge_mergepath_partition_kernelINS1_37wrapped_merge_sort_block_merge_configINS0_14default_configEiN2at4cuda3cub6detail10OpaqueTypeILi1EEEEEPijNS1_19radix_merge_compareILb0ELb0EiNS0_19identity_decomposerEEEEEvT0_T1_jPSH_T2_SH_.has_indirect_call, 0
	.section	.AMDGPU.csdata,"",@progbits
; Kernel info:
; codeLenInByte = 320
; TotalNumSgprs: 12
; NumVgprs: 17
; NumAgprs: 0
; TotalNumVgprs: 17
; ScratchSize: 0
; MemoryBound: 0
; FloatMode: 240
; IeeeMode: 1
; LDSByteSize: 0 bytes/workgroup (compile time only)
; SGPRBlocks: 1
; VGPRBlocks: 2
; NumSGPRsForWavesPerEU: 12
; NumVGPRsForWavesPerEU: 17
; AccumOffset: 20
; Occupancy: 8
; WaveLimiterHint : 0
; COMPUTE_PGM_RSRC2:SCRATCH_EN: 0
; COMPUTE_PGM_RSRC2:USER_SGPR: 2
; COMPUTE_PGM_RSRC2:TRAP_HANDLER: 0
; COMPUTE_PGM_RSRC2:TGID_X_EN: 1
; COMPUTE_PGM_RSRC2:TGID_Y_EN: 0
; COMPUTE_PGM_RSRC2:TGID_Z_EN: 0
; COMPUTE_PGM_RSRC2:TIDIG_COMP_CNT: 0
; COMPUTE_PGM_RSRC3_GFX90A:ACCUM_OFFSET: 4
; COMPUTE_PGM_RSRC3_GFX90A:TG_SPLIT: 0
	.section	.text._ZN7rocprim17ROCPRIM_304000_NS6detail35device_block_merge_mergepath_kernelINS1_37wrapped_merge_sort_block_merge_configINS0_14default_configEiN2at4cuda3cub6detail10OpaqueTypeILi1EEEEEPiSC_PSA_SD_jNS1_19radix_merge_compareILb0ELb0EiNS0_19identity_decomposerEEEEEvT0_T1_T2_T3_T4_SL_jT5_PKSL_NS1_7vsmem_tE,"axG",@progbits,_ZN7rocprim17ROCPRIM_304000_NS6detail35device_block_merge_mergepath_kernelINS1_37wrapped_merge_sort_block_merge_configINS0_14default_configEiN2at4cuda3cub6detail10OpaqueTypeILi1EEEEEPiSC_PSA_SD_jNS1_19radix_merge_compareILb0ELb0EiNS0_19identity_decomposerEEEEEvT0_T1_T2_T3_T4_SL_jT5_PKSL_NS1_7vsmem_tE,comdat
	.protected	_ZN7rocprim17ROCPRIM_304000_NS6detail35device_block_merge_mergepath_kernelINS1_37wrapped_merge_sort_block_merge_configINS0_14default_configEiN2at4cuda3cub6detail10OpaqueTypeILi1EEEEEPiSC_PSA_SD_jNS1_19radix_merge_compareILb0ELb0EiNS0_19identity_decomposerEEEEEvT0_T1_T2_T3_T4_SL_jT5_PKSL_NS1_7vsmem_tE ; -- Begin function _ZN7rocprim17ROCPRIM_304000_NS6detail35device_block_merge_mergepath_kernelINS1_37wrapped_merge_sort_block_merge_configINS0_14default_configEiN2at4cuda3cub6detail10OpaqueTypeILi1EEEEEPiSC_PSA_SD_jNS1_19radix_merge_compareILb0ELb0EiNS0_19identity_decomposerEEEEEvT0_T1_T2_T3_T4_SL_jT5_PKSL_NS1_7vsmem_tE
	.globl	_ZN7rocprim17ROCPRIM_304000_NS6detail35device_block_merge_mergepath_kernelINS1_37wrapped_merge_sort_block_merge_configINS0_14default_configEiN2at4cuda3cub6detail10OpaqueTypeILi1EEEEEPiSC_PSA_SD_jNS1_19radix_merge_compareILb0ELb0EiNS0_19identity_decomposerEEEEEvT0_T1_T2_T3_T4_SL_jT5_PKSL_NS1_7vsmem_tE
	.p2align	8
	.type	_ZN7rocprim17ROCPRIM_304000_NS6detail35device_block_merge_mergepath_kernelINS1_37wrapped_merge_sort_block_merge_configINS0_14default_configEiN2at4cuda3cub6detail10OpaqueTypeILi1EEEEEPiSC_PSA_SD_jNS1_19radix_merge_compareILb0ELb0EiNS0_19identity_decomposerEEEEEvT0_T1_T2_T3_T4_SL_jT5_PKSL_NS1_7vsmem_tE,@function
_ZN7rocprim17ROCPRIM_304000_NS6detail35device_block_merge_mergepath_kernelINS1_37wrapped_merge_sort_block_merge_configINS0_14default_configEiN2at4cuda3cub6detail10OpaqueTypeILi1EEEEEPiSC_PSA_SD_jNS1_19radix_merge_compareILb0ELb0EiNS0_19identity_decomposerEEEEEvT0_T1_T2_T3_T4_SL_jT5_PKSL_NS1_7vsmem_tE: ; @_ZN7rocprim17ROCPRIM_304000_NS6detail35device_block_merge_mergepath_kernelINS1_37wrapped_merge_sort_block_merge_configINS0_14default_configEiN2at4cuda3cub6detail10OpaqueTypeILi1EEEEEPiSC_PSA_SD_jNS1_19radix_merge_compareILb0ELb0EiNS0_19identity_decomposerEEEEEvT0_T1_T2_T3_T4_SL_jT5_PKSL_NS1_7vsmem_tE
; %bb.0:
	s_load_dwordx2 s[10:11], s[0:1], 0x40
	s_load_dwordx4 s[20:23], s[0:1], 0x20
	s_add_u32 s8, s0, 64
	s_addc_u32 s9, s1, 0
	s_waitcnt lgkmcnt(0)
	s_mul_i32 s4, s11, s4
	s_add_i32 s3, s4, s3
	s_mul_i32 s3, s3, s10
	s_add_i32 s6, s3, s2
	s_cmp_ge_u32 s6, s22
	s_cbranch_scc1 .LBB18_105
; %bb.1:
	s_load_dwordx8 s[12:19], s[0:1], 0x0
	s_load_dwordx2 s[4:5], s[0:1], 0x30
	s_lshr_b32 s11, s20, 10
	s_cmp_lg_u32 s6, s11
	s_mov_b32 s7, 0
	s_cselect_b64 s[24:25], -1, 0
	s_lshl_b64 s[0:1], s[6:7], 2
	s_waitcnt lgkmcnt(0)
	s_add_u32 s0, s4, s0
	s_addc_u32 s1, s5, s1
	s_load_dwordx2 s[26:27], s[0:1], 0x0
	s_lshr_b32 s0, s21, 9
	s_and_b32 s0, s0, 0x7ffffe
	s_sub_i32 s0, 0, s0
	s_and_b32 s1, s6, s0
	s_lshl_b32 s3, s1, 10
	s_lshl_b32 s22, s6, 10
	;; [unrolled: 1-line block ×3, first 2 shown]
	s_sub_i32 s4, s22, s3
	s_add_i32 s1, s1, s21
	s_add_i32 s4, s1, s4
	s_waitcnt lgkmcnt(0)
	s_sub_i32 s5, s4, s26
	s_sub_i32 s4, s4, s27
	;; [unrolled: 1-line block ×3, first 2 shown]
	s_min_u32 s28, s20, s5
	s_addk_i32 s4, 0x400
	s_or_b32 s0, s6, s0
	s_min_u32 s3, s20, s1
	s_add_i32 s1, s1, s21
	s_cmp_eq_u32 s0, -1
	s_cselect_b32 s0, s1, s4
	s_cselect_b32 s1, s3, s27
	s_min_u32 s0, s0, s20
	s_mov_b32 s27, s7
	s_sub_i32 s23, s1, s26
	s_sub_i32 s33, s0, s28
	s_lshl_b64 s[0:1], s[26:27], 2
	s_add_u32 s0, s12, s0
	s_mov_b32 s29, s7
	s_addc_u32 s1, s13, s1
	s_lshl_b64 s[4:5], s[28:29], 2
	s_add_u32 s4, s12, s4
	s_addc_u32 s5, s13, s5
	s_cmp_lt_u32 s2, s10
	v_mov_b32_e32 v11, 0
	s_cselect_b32 s2, 12, 18
	global_load_dword v1, v11, s[8:9] offset:14
	s_add_u32 s2, s8, s2
	s_addc_u32 s3, s9, 0
	global_load_ushort v2, v11, s[2:3]
	v_cmp_gt_u32_e32 vcc, s23, v0
	s_cmp_eq_u32 s6, s11
	v_lshlrev_b32_e32 v10, 2, v0
	s_waitcnt vmcnt(1)
	v_lshrrev_b32_e32 v3, 16, v1
	v_and_b32_e32 v1, 0xffff, v1
	v_mul_lo_u32 v1, v1, v3
	s_waitcnt vmcnt(0)
	v_mul_lo_u32 v1, v1, v2
	v_add_u32_e32 v12, v1, v0
	s_cbranch_scc1 .LBB18_3
; %bb.2:
	v_subrev_u32_e32 v4, s23, v0
	v_lshlrev_b32_e32 v4, 2, v4
	v_mov_b32_e32 v5, v11
	v_lshl_add_u64 v[2:3], s[0:1], 0, v[10:11]
	v_lshl_add_u64 v[4:5], s[4:5], 0, v[4:5]
	v_cndmask_b32_e32 v3, v5, v3, vcc
	v_cndmask_b32_e32 v2, v4, v2, vcc
	v_mov_b32_e32 v13, v11
	v_subrev_co_u32_e32 v6, vcc, s23, v12
	v_mov_b32_e32 v7, v11
	v_lshl_add_u64 v[4:5], v[12:13], 2, s[0:1]
	v_lshl_add_u64 v[6:7], v[6:7], 2, s[4:5]
	v_cndmask_b32_e32 v4, v6, v4, vcc
	v_add_u32_e32 v6, v12, v1
	v_cndmask_b32_e32 v5, v7, v5, vcc
	v_mov_b32_e32 v7, v11
	v_subrev_co_u32_e32 v8, vcc, s23, v6
	v_mov_b32_e32 v9, v11
	global_load_dword v2, v[2:3], off
	v_lshl_add_u64 v[8:9], v[8:9], 2, s[4:5]
	global_load_dword v3, v[4:5], off
	v_lshl_add_u64 v[4:5], v[6:7], 2, s[0:1]
	v_add_u32_e32 v6, v6, v1
	v_cndmask_b32_e32 v5, v9, v5, vcc
	v_cndmask_b32_e32 v4, v8, v4, vcc
	v_subrev_co_u32_e32 v14, vcc, s23, v6
	v_mov_b32_e32 v15, v11
	v_lshl_add_u64 v[8:9], v[6:7], 2, s[0:1]
	v_lshl_add_u64 v[14:15], v[14:15], 2, s[4:5]
	v_cndmask_b32_e32 v9, v15, v9, vcc
	v_cndmask_b32_e32 v8, v14, v8, vcc
	global_load_dword v4, v[4:5], off
	v_mov_b32_e32 v15, v11
	global_load_dword v5, v[8:9], off
	v_add_u32_e32 v8, v6, v1
	v_mov_b32_e32 v9, v11
	v_subrev_co_u32_e32 v14, vcc, s23, v8
	v_lshl_add_u64 v[6:7], v[8:9], 2, s[0:1]
	v_lshl_add_u64 v[14:15], v[14:15], 2, s[4:5]
	v_add_u32_e32 v8, v8, v1
	v_cndmask_b32_e32 v7, v15, v7, vcc
	v_cndmask_b32_e32 v6, v14, v6, vcc
	v_subrev_co_u32_e32 v16, vcc, s23, v8
	v_mov_b32_e32 v17, v11
	v_lshl_add_u64 v[14:15], v[8:9], 2, s[0:1]
	v_lshl_add_u64 v[16:17], v[16:17], 2, s[4:5]
	v_cndmask_b32_e32 v15, v17, v15, vcc
	v_cndmask_b32_e32 v14, v16, v14, vcc
	global_load_dword v6, v[6:7], off
	v_mov_b32_e32 v17, v11
	global_load_dword v7, v[14:15], off
	v_add_u32_e32 v14, v8, v1
	v_mov_b32_e32 v15, v11
	v_subrev_co_u32_e32 v16, vcc, s23, v14
	v_lshl_add_u64 v[8:9], v[14:15], 2, s[0:1]
	v_lshl_add_u64 v[16:17], v[16:17], 2, s[4:5]
	v_add_u32_e32 v14, v14, v1
	v_cndmask_b32_e32 v9, v17, v9, vcc
	v_cndmask_b32_e32 v8, v16, v8, vcc
	v_lshl_add_u64 v[16:17], v[14:15], 2, s[0:1]
	v_subrev_co_u32_e32 v14, vcc, s23, v14
	v_lshl_add_u64 v[14:15], v[14:15], 2, s[4:5]
	s_nop 0
	v_cndmask_b32_e32 v15, v15, v17, vcc
	v_cndmask_b32_e32 v14, v14, v16, vcc
	global_load_dword v8, v[8:9], off
	s_add_i32 s21, s33, s23
	global_load_dword v9, v[14:15], off
	s_cbranch_execz .LBB18_4
	s_branch .LBB18_21
.LBB18_3:
                                        ; implicit-def: $vgpr2_vgpr3_vgpr4_vgpr5_vgpr6_vgpr7_vgpr8_vgpr9
                                        ; implicit-def: $sgpr21
.LBB18_4:
	s_add_i32 s21, s33, s23
	s_waitcnt vmcnt(7)
	v_mov_b32_e32 v2, 0
	v_cmp_gt_u32_e32 vcc, s21, v0
	s_waitcnt vmcnt(6)
	v_mov_b32_e32 v3, v2
	s_waitcnt vmcnt(5)
	v_mov_b32_e32 v4, v2
	s_waitcnt vmcnt(4)
	v_mov_b32_e32 v5, v2
	s_waitcnt vmcnt(3)
	v_mov_b32_e32 v6, v2
	s_waitcnt vmcnt(2)
	v_mov_b32_e32 v7, v2
	s_waitcnt vmcnt(1)
	v_mov_b32_e32 v8, v2
	s_waitcnt vmcnt(0)
	v_mov_b32_e32 v9, v2
	s_and_saveexec_b64 s[2:3], vcc
	s_cbranch_execz .LBB18_6
; %bb.5:
	v_subrev_u32_e32 v3, s23, v0
	v_mov_b32_e32 v11, v2
	v_lshlrev_b32_e32 v6, 2, v3
	v_mov_b32_e32 v7, v2
	v_lshl_add_u64 v[4:5], s[0:1], 0, v[10:11]
	v_lshl_add_u64 v[6:7], s[4:5], 0, v[6:7]
	v_cmp_gt_u32_e32 vcc, s23, v0
	v_mov_b32_e32 v15, v2
	v_mov_b32_e32 v16, v2
	v_cndmask_b32_e32 v5, v7, v5, vcc
	v_cndmask_b32_e32 v4, v6, v4, vcc
	global_load_dword v14, v[4:5], off
	v_mov_b32_e32 v17, v2
	v_mov_b32_e32 v18, v2
	v_mov_b32_e32 v19, v2
	v_mov_b32_e32 v20, v2
	v_mov_b32_e32 v21, v2
	s_waitcnt vmcnt(0)
	v_mov_b64_e32 v[2:3], v[14:15]
	v_mov_b64_e32 v[4:5], v[16:17]
	;; [unrolled: 1-line block ×4, first 2 shown]
.LBB18_6:
	s_or_b64 exec, exec, s[2:3]
	v_cmp_gt_u32_e32 vcc, s21, v12
	s_and_saveexec_b64 s[2:3], vcc
	s_cbranch_execz .LBB18_8
; %bb.7:
	v_mov_b32_e32 v13, 0
	v_subrev_co_u32_e32 v16, vcc, s23, v12
	v_mov_b32_e32 v17, v13
	v_lshl_add_u64 v[14:15], v[12:13], 2, s[0:1]
	v_lshl_add_u64 v[16:17], v[16:17], 2, s[4:5]
	v_cndmask_b32_e32 v15, v17, v15, vcc
	v_cndmask_b32_e32 v14, v16, v14, vcc
	global_load_dword v3, v[14:15], off
.LBB18_8:
	s_or_b64 exec, exec, s[2:3]
	v_add_u32_e32 v12, v12, v1
	v_cmp_gt_u32_e32 vcc, s21, v12
	s_and_saveexec_b64 s[2:3], vcc
	s_cbranch_execz .LBB18_10
; %bb.9:
	v_mov_b32_e32 v13, 0
	v_subrev_co_u32_e32 v16, vcc, s23, v12
	v_mov_b32_e32 v17, v13
	v_lshl_add_u64 v[14:15], v[12:13], 2, s[0:1]
	v_lshl_add_u64 v[16:17], v[16:17], 2, s[4:5]
	v_cndmask_b32_e32 v15, v17, v15, vcc
	v_cndmask_b32_e32 v14, v16, v14, vcc
	global_load_dword v4, v[14:15], off
.LBB18_10:
	s_or_b64 exec, exec, s[2:3]
	v_add_u32_e32 v12, v12, v1
	;; [unrolled: 15-line block ×6, first 2 shown]
	v_cmp_gt_u32_e32 vcc, s21, v12
	s_and_saveexec_b64 s[2:3], vcc
	s_cbranch_execz .LBB18_20
; %bb.19:
	v_mov_b32_e32 v13, 0
	v_lshl_add_u64 v[14:15], v[12:13], 2, s[0:1]
	v_subrev_co_u32_e32 v12, vcc, s23, v12
	v_lshl_add_u64 v[12:13], v[12:13], 2, s[4:5]
	s_nop 0
	v_cndmask_b32_e32 v13, v13, v15, vcc
	v_cndmask_b32_e32 v12, v12, v14, vcc
	global_load_dword v9, v[12:13], off
.LBB18_20:
	s_or_b64 exec, exec, s[2:3]
.LBB18_21:
	v_lshlrev_b32_e32 v11, 3, v0
	v_min_u32_e32 v1, s21, v11
	v_sub_u32_e64 v12, v1, s33 clamp
	v_min_u32_e32 v13, s23, v1
	v_cmp_lt_u32_e32 vcc, v12, v13
	s_waitcnt vmcnt(0)
	ds_write2st64_b32 v10, v2, v3 offset1:2
	ds_write2st64_b32 v10, v4, v5 offset0:4 offset1:6
	ds_write2st64_b32 v10, v6, v7 offset0:8 offset1:10
	;; [unrolled: 1-line block ×3, first 2 shown]
	s_waitcnt lgkmcnt(0)
	s_barrier
	s_and_saveexec_b64 s[0:1], vcc
	s_cbranch_execz .LBB18_25
; %bb.22:
	v_lshlrev_b32_e32 v14, 2, v1
	v_lshl_add_u32 v14, s23, 2, v14
	s_mov_b64 s[2:3], 0
.LBB18_23:                              ; =>This Inner Loop Header: Depth=1
	v_add_u32_e32 v15, v13, v12
	v_lshrrev_b32_e32 v15, 1, v15
	v_not_b32_e32 v16, v15
	v_lshlrev_b32_e32 v17, 2, v15
	v_lshl_add_u32 v16, v16, 2, v14
	ds_read_b32 v17, v17
	ds_read_b32 v16, v16
	v_add_u32_e32 v18, 1, v15
	s_waitcnt lgkmcnt(0)
	v_cmp_gt_i32_e32 vcc, v17, v16
	s_nop 1
	v_cndmask_b32_e32 v13, v13, v15, vcc
	v_cndmask_b32_e32 v12, v18, v12, vcc
	v_cmp_ge_u32_e32 vcc, v12, v13
	s_or_b64 s[2:3], vcc, s[2:3]
	s_andn2_b64 exec, exec, s[2:3]
	s_cbranch_execnz .LBB18_23
; %bb.24:
	s_or_b64 exec, exec, s[2:3]
.LBB18_25:
	s_or_b64 exec, exec, s[0:1]
	v_sub_u32_e32 v1, v1, v12
	v_add_u32_e32 v13, s23, v1
	v_cmp_ge_u32_e32 vcc, s23, v12
	v_cmp_ge_u32_e64 s[0:1], s21, v13
	s_or_b64 s[0:1], vcc, s[0:1]
	v_mov_b32_e32 v18, 0
	v_mov_b32_e32 v23, 0
	;; [unrolled: 1-line block ×8, first 2 shown]
	s_and_saveexec_b64 s[30:31], s[0:1]
	s_cbranch_execz .LBB18_31
; %bb.26:
	v_cmp_gt_u32_e32 vcc, s23, v12
                                        ; implicit-def: $vgpr1
	s_and_saveexec_b64 s[0:1], vcc
; %bb.27:
	v_lshlrev_b32_e32 v1, 2, v12
	ds_read_b32 v1, v1
; %bb.28:
	s_or_b64 exec, exec, s[0:1]
	v_cmp_le_u32_e64 s[0:1], s21, v13
	v_cmp_gt_u32_e64 s[2:3], s21, v13
                                        ; implicit-def: $vgpr2
	s_and_saveexec_b64 s[4:5], s[2:3]
; %bb.29:
	v_lshlrev_b32_e32 v2, 2, v13
	ds_read_b32 v2, v2
; %bb.30:
	s_or_b64 exec, exec, s[4:5]
	s_waitcnt lgkmcnt(0)
	v_cmp_le_i32_e64 s[2:3], v1, v2
	s_and_b64 s[2:3], vcc, s[2:3]
	s_or_b64 vcc, s[0:1], s[2:3]
	v_mov_b32_e32 v5, s21
	v_mov_b32_e32 v6, s23
	v_cndmask_b32_e32 v16, v13, v12, vcc
	v_cndmask_b32_e32 v3, v5, v6, vcc
	v_add_u32_e32 v4, 1, v16
	v_add_u32_e32 v3, -1, v3
	v_min_u32_e32 v3, v4, v3
	v_lshlrev_b32_e32 v3, 2, v3
	ds_read_b32 v3, v3
	v_cndmask_b32_e32 v8, v4, v13, vcc
	v_cndmask_b32_e32 v4, v12, v4, vcc
	v_cmp_gt_u32_e64 s[2:3], s23, v4
	v_cmp_le_u32_e64 s[0:1], s21, v8
	s_waitcnt lgkmcnt(0)
	v_cndmask_b32_e32 v7, v3, v2, vcc
	v_cndmask_b32_e32 v3, v1, v3, vcc
	v_cmp_le_i32_e64 s[4:5], v3, v7
	s_and_b64 s[2:3], s[2:3], s[4:5]
	s_or_b64 s[0:1], s[0:1], s[2:3]
	v_cndmask_b32_e64 v17, v8, v4, s[0:1]
	v_cndmask_b32_e64 v9, v5, v6, s[0:1]
	v_add_u32_e32 v12, 1, v17
	v_add_u32_e32 v9, -1, v9
	v_min_u32_e32 v9, v12, v9
	v_lshlrev_b32_e32 v9, 2, v9
	ds_read_b32 v9, v9
	v_cndmask_b32_e64 v4, v4, v12, s[0:1]
	v_cndmask_b32_e64 v8, v12, v8, s[0:1]
	v_cmp_gt_u32_e64 s[4:5], s23, v4
	v_cmp_le_u32_e64 s[2:3], s21, v8
	s_waitcnt lgkmcnt(0)
	v_cndmask_b32_e64 v13, v9, v7, s[0:1]
	v_cndmask_b32_e64 v9, v3, v9, s[0:1]
	v_cmp_le_i32_e64 s[6:7], v9, v13
	s_and_b64 s[4:5], s[4:5], s[6:7]
	s_or_b64 s[2:3], s[2:3], s[4:5]
	v_cndmask_b32_e64 v19, v8, v4, s[2:3]
	v_cndmask_b32_e64 v12, v5, v6, s[2:3]
	v_add_u32_e32 v14, 1, v19
	v_add_u32_e32 v12, -1, v12
	v_min_u32_e32 v12, v14, v12
	v_lshlrev_b32_e32 v12, 2, v12
	ds_read_b32 v12, v12
	v_cndmask_b32_e64 v4, v4, v14, s[2:3]
	v_cndmask_b32_e64 v8, v14, v8, s[2:3]
	v_cmp_gt_u32_e64 s[6:7], s23, v4
	v_cmp_le_u32_e64 s[4:5], s21, v8
	s_waitcnt lgkmcnt(0)
	v_cndmask_b32_e64 v15, v12, v13, s[2:3]
	v_cndmask_b32_e64 v12, v9, v12, s[2:3]
	;; [unrolled: 17-line block ×4, first 2 shown]
	v_cmp_le_i32_e64 s[12:13], v18, v25
	s_and_b64 s[10:11], s[10:11], s[12:13]
	s_or_b64 s[8:9], s[8:9], s[10:11]
	v_cndmask_b32_e64 v22, v8, v23, s[8:9]
	v_cndmask_b32_e64 v4, v5, v6, s[8:9]
	v_add_u32_e32 v26, 1, v22
	v_add_u32_e32 v4, -1, v4
	v_min_u32_e32 v4, v26, v4
	v_lshlrev_b32_e32 v4, 2, v4
	ds_read_b32 v27, v4
	v_cndmask_b32_e32 v2, v2, v1, vcc
	v_cndmask_b32_e64 v4, v13, v9, s[2:3]
	v_cndmask_b32_e64 v13, v26, v8, s[8:9]
	;; [unrolled: 1-line block ×3, first 2 shown]
	s_waitcnt lgkmcnt(0)
	v_cndmask_b32_e64 v1, v27, v25, s[8:9]
	v_cndmask_b32_e64 v9, v18, v27, s[8:9]
	v_cndmask_b32_e64 v3, v7, v3, s[0:1]
	v_cmp_gt_u32_e64 s[0:1], s23, v26
	v_cmp_le_i32_e64 s[2:3], v9, v1
	v_cmp_le_u32_e32 vcc, s21, v13
	s_and_b64 s[0:1], s[0:1], s[2:3]
	s_or_b64 vcc, vcc, s[0:1]
	v_cndmask_b32_e32 v23, v13, v26, vcc
	v_cndmask_b32_e32 v5, v5, v6, vcc
	v_add_u32_e32 v27, 1, v23
	v_add_u32_e32 v5, -1, v5
	v_min_u32_e32 v5, v27, v5
	v_lshlrev_b32_e32 v5, 2, v5
	ds_read_b32 v28, v5
	v_cndmask_b32_e64 v5, v15, v12, s[4:5]
	v_cndmask_b32_e32 v8, v1, v9, vcc
	v_cndmask_b32_e32 v12, v27, v13, vcc
	v_cndmask_b32_e32 v13, v26, v27, vcc
	s_waitcnt lgkmcnt(0)
	v_cndmask_b32_e32 v1, v28, v1, vcc
	v_cndmask_b32_e32 v9, v9, v28, vcc
	v_cmp_gt_u32_e64 s[0:1], s23, v13
	v_cmp_le_i32_e64 s[2:3], v9, v1
	v_cmp_le_u32_e32 vcc, s21, v12
	s_and_b64 s[0:1], s[0:1], s[2:3]
	s_or_b64 vcc, vcc, s[0:1]
	v_cndmask_b32_e64 v6, v24, v14, s[6:7]
	v_cndmask_b32_e64 v7, v25, v18, s[8:9]
	v_cndmask_b32_e32 v18, v12, v13, vcc
	v_cndmask_b32_e32 v9, v1, v9, vcc
.LBB18_31:
	s_or_b64 exec, exec, s[30:31]
	s_add_u32 s8, s16, s26
	s_addc_u32 s9, s17, 0
	s_add_u32 s6, s16, s28
	v_cndmask_b32_e64 v12, 0, 1, s[24:25]
	v_mov_b32_e32 v1, 0
	s_addc_u32 s7, s17, 0
	v_cmp_gt_u32_e64 s[4:5], s23, v0
	v_cmp_ne_u32_e64 s[0:1], 1, v12
	s_andn2_b64 vcc, exec, s[24:25]
	v_cmp_le_u32_e64 s[2:3], s23, v0
	s_barrier
	s_cbranch_vccnz .LBB18_33
; %bb.32:
	v_subrev_u32_e32 v14, s23, v0
	v_mov_b32_e32 v15, v1
	v_lshl_add_u64 v[12:13], s[8:9], 0, v[0:1]
	v_lshl_add_u64 v[14:15], s[6:7], 0, v[14:15]
	v_cndmask_b32_e64 v13, v15, v13, s[4:5]
	v_cndmask_b32_e64 v12, v14, v12, s[4:5]
	global_load_ubyte v25, v[12:13], off
	v_or_b32_e32 v13, 0x80, v0
	v_subrev_u32_e32 v12, s23, v13
	v_mov_b32_e32 v26, s7
	v_mov_b32_e32 v27, s9
	v_cmp_gt_u32_e32 vcc, s23, v13
	v_mov_b32_e32 v28, s6
	v_mov_b32_e32 v29, s8
	v_min_u32_e32 v12, v13, v12
	v_cndmask_b32_e32 v15, v26, v27, vcc
	v_cndmask_b32_e32 v14, v28, v29, vcc
	v_mov_b32_e32 v13, v1
	v_lshl_add_u64 v[12:13], v[14:15], 0, v[12:13]
	global_load_ubyte v30, v[12:13], off
	v_or_b32_e32 v13, 0x100, v0
	v_subrev_u32_e32 v12, s23, v13
	v_cmp_gt_u32_e32 vcc, s23, v13
	v_min_u32_e32 v12, v13, v12
	v_mov_b32_e32 v13, v1
	v_cndmask_b32_e32 v15, v26, v27, vcc
	v_cndmask_b32_e32 v14, v28, v29, vcc
	v_lshl_add_u64 v[12:13], v[14:15], 0, v[12:13]
	global_load_ubyte v31, v[12:13], off
	v_or_b32_e32 v13, 0x180, v0
	v_subrev_u32_e32 v12, s23, v13
	v_cmp_gt_u32_e32 vcc, s23, v13
	v_min_u32_e32 v12, v13, v12
	v_mov_b32_e32 v13, v1
	v_cndmask_b32_e32 v15, v26, v27, vcc
	v_cndmask_b32_e32 v14, v28, v29, vcc
	;; [unrolled: 9-line block ×5, first 2 shown]
	v_lshl_add_u64 v[12:13], v[14:15], 0, v[12:13]
	global_load_ubyte v15, v[12:13], off
	v_or_b32_e32 v24, 0x380, v0
	v_subrev_u32_e32 v12, s23, v24
	v_cmp_gt_u32_e32 vcc, s23, v24
	v_min_u32_e32 v14, v24, v12
	s_nop 0
	v_cndmask_b32_e32 v13, v26, v27, vcc
	v_cndmask_b32_e32 v12, v28, v29, vcc
	s_mov_b64 s[4:5], -1
	s_waitcnt vmcnt(6)
	ds_write_b8 v0, v25
	s_waitcnt vmcnt(5)
	ds_write_b8 v0, v30 offset:128
	s_waitcnt vmcnt(4)
	ds_write_b8 v0, v31 offset:256
	s_waitcnt vmcnt(3)
	ds_write_b8 v0, v32 offset:384
	s_waitcnt vmcnt(2)
	ds_write_b8 v0, v33 offset:512
	s_waitcnt vmcnt(1)
	ds_write_b8 v0, v34 offset:640
	s_waitcnt vmcnt(0)
	ds_write_b8 v0, v15 offset:768
	s_cbranch_execz .LBB18_34
	s_branch .LBB18_67
.LBB18_33:
	s_mov_b64 s[4:5], 0
                                        ; implicit-def: $vgpr24
                                        ; implicit-def: $vgpr12_vgpr13
                                        ; implicit-def: $vgpr14
.LBB18_34:
	s_and_saveexec_b64 s[4:5], s[2:3]
	s_xor_b64 s[2:3], exec, s[4:5]
	s_cbranch_execz .LBB18_38
; %bb.35:
	v_subrev_u32_e32 v12, s23, v0
	v_cmp_gt_u32_e32 vcc, s33, v12
	s_and_saveexec_b64 s[4:5], vcc
	s_cbranch_execz .LBB18_37
; %bb.36:
	global_load_ubyte v12, v12, s[6:7]
	s_waitcnt vmcnt(0)
	ds_write_b8 v0, v12
.LBB18_37:
	s_or_b64 exec, exec, s[4:5]
.LBB18_38:
	s_andn2_saveexec_b64 s[2:3], s[2:3]
	s_cbranch_execz .LBB18_40
; %bb.39:
	v_lshl_add_u64 v[12:13], s[8:9], 0, v[0:1]
	global_load_ubyte v1, v[12:13], off
	s_waitcnt vmcnt(0)
	ds_write_b8 v0, v1
.LBB18_40:
	s_or_b64 exec, exec, s[2:3]
	v_or_b32_e32 v12, 0x80, v0
	v_cmp_le_u32_e32 vcc, s23, v12
	s_mov_b64 s[2:3], -1
	v_mov_b64_e32 v[14:15], s[26:27]
	s_and_saveexec_b64 s[4:5], vcc
; %bb.41:
	v_subrev_u32_e32 v12, s23, v12
	v_cmp_gt_u32_e32 vcc, s33, v12
	v_mov_b64_e32 v[14:15], s[28:29]
	s_orn2_b64 s[2:3], vcc, exec
; %bb.42:
	s_or_b64 exec, exec, s[4:5]
	s_and_saveexec_b64 s[4:5], s[2:3]
	s_cbranch_execz .LBB18_44
; %bb.43:
	v_lshl_add_u64 v[14:15], s[16:17], 0, v[14:15]
	v_mov_b32_e32 v13, 0
	v_lshl_add_u64 v[12:13], v[14:15], 0, v[12:13]
	global_load_ubyte v1, v[12:13], off
	s_waitcnt vmcnt(0)
	ds_write_b8 v0, v1 offset:128
.LBB18_44:
	s_or_b64 exec, exec, s[4:5]
	v_or_b32_e32 v12, 0x100, v0
	v_cmp_le_u32_e32 vcc, s23, v12
	s_mov_b64 s[2:3], -1
	v_mov_b64_e32 v[14:15], s[26:27]
	s_and_saveexec_b64 s[4:5], vcc
; %bb.45:
	v_subrev_u32_e32 v12, s23, v12
	v_cmp_gt_u32_e32 vcc, s33, v12
	v_mov_b64_e32 v[14:15], s[28:29]
	s_orn2_b64 s[2:3], vcc, exec
; %bb.46:
	s_or_b64 exec, exec, s[4:5]
	s_and_saveexec_b64 s[4:5], s[2:3]
	s_cbranch_execz .LBB18_48
; %bb.47:
	v_lshl_add_u64 v[14:15], s[16:17], 0, v[14:15]
	v_mov_b32_e32 v13, 0
	v_lshl_add_u64 v[12:13], v[14:15], 0, v[12:13]
	global_load_ubyte v1, v[12:13], off
	s_waitcnt vmcnt(0)
	ds_write_b8 v0, v1 offset:256
.LBB18_48:
	;; [unrolled: 23-line block ×6, first 2 shown]
	s_or_b64 exec, exec, s[4:5]
	v_or_b32_e32 v24, 0x380, v0
	v_cmp_le_u32_e32 vcc, s23, v24
	s_mov_b64 s[4:5], -1
	v_mov_b64_e32 v[12:13], s[8:9]
	v_mov_b32_e32 v14, v24
	s_and_saveexec_b64 s[2:3], vcc
; %bb.65:
	v_subrev_u32_e32 v14, s23, v24
	v_cmp_gt_u32_e32 vcc, s33, v14
	v_mov_b64_e32 v[12:13], s[6:7]
	s_orn2_b64 s[4:5], vcc, exec
; %bb.66:
	s_or_b64 exec, exec, s[2:3]
.LBB18_67:
	s_and_saveexec_b64 s[2:3], s[4:5]
	s_cbranch_execz .LBB18_69
; %bb.68:
	v_mov_b32_e32 v15, 0
	v_lshl_add_u64 v[12:13], v[12:13], 0, v[14:15]
	global_load_ubyte v1, v[12:13], off
	s_waitcnt vmcnt(0)
	ds_write_b8 v24, v1
.LBB18_69:
	s_or_b64 exec, exec, s[2:3]
	s_and_b64 vcc, exec, s[0:1]
	v_add_u32_e32 v12, s22, v11
	s_waitcnt lgkmcnt(0)
	s_barrier
	s_cbranch_vccnz .LBB18_71
; %bb.70:
	ds_read_u8 v1, v23
	ds_read_u8 v14, v17
	;; [unrolled: 1-line block ×7, first 2 shown]
	s_mov_b32 s0, 0xc0c0004
	s_waitcnt lgkmcnt(4)
	v_perm_b32 v14, v15, v14, s0
	s_waitcnt lgkmcnt(2)
	v_perm_b32 v15, v25, v24, s0
	v_mov_b32_e32 v13, 0
	v_lshl_or_b32 v14, v15, 16, v14
	s_waitcnt lgkmcnt(0)
	v_perm_b32 v15, v27, v26, s0
	s_mov_b64 s[0:1], -1
	global_store_byte v12, v1, s[18:19] offset:6
	global_store_short v12, v15, s[18:19] offset:4
	global_store_dword v12, v14, s[18:19]
	s_cbranch_execz .LBB18_72
	s_branch .LBB18_89
.LBB18_71:
	s_mov_b64 s[0:1], 0
.LBB18_72:
	v_cmp_gt_u32_e32 vcc, s21, v11
	s_and_saveexec_b64 s[2:3], vcc
	s_cbranch_execz .LBB18_74
; %bb.73:
	ds_read_u8 v1, v16
	s_waitcnt lgkmcnt(0)
	global_store_byte v12, v1, s[18:19]
.LBB18_74:
	s_or_b64 exec, exec, s[2:3]
	v_or_b32_e32 v1, 1, v11
	v_cmp_gt_u32_e32 vcc, s21, v1
	s_and_saveexec_b64 s[2:3], vcc
	s_cbranch_execz .LBB18_76
; %bb.75:
	ds_read_u8 v1, v17
	s_waitcnt lgkmcnt(0)
	global_store_byte v12, v1, s[18:19] offset:1
.LBB18_76:
	s_or_b64 exec, exec, s[2:3]
	v_or_b32_e32 v1, 2, v11
	v_cmp_gt_u32_e32 vcc, s21, v1
	s_and_saveexec_b64 s[2:3], vcc
	s_cbranch_execz .LBB18_78
; %bb.77:
	ds_read_u8 v1, v19
	s_waitcnt lgkmcnt(0)
	global_store_byte v12, v1, s[18:19] offset:2
.LBB18_78:
	;; [unrolled: 10-line block ×6, first 2 shown]
	s_or_b64 exec, exec, s[2:3]
	v_or_b32_e32 v1, 7, v11
	v_cmp_gt_u32_e32 vcc, s21, v1
	s_and_saveexec_b64 s[2:3], vcc
; %bb.87:
	v_mov_b32_e32 v13, 0
	s_or_b64 s[0:1], s[0:1], exec
; %bb.88:
	s_or_b64 exec, exec, s[2:3]
.LBB18_89:
	s_and_saveexec_b64 s[2:3], s[0:1]
	s_cbranch_execz .LBB18_91
; %bb.90:
	ds_read_u8 v1, v18
	v_lshl_add_u64 v[12:13], s[18:19], 0, v[12:13]
	s_waitcnt lgkmcnt(0)
	global_store_byte v[12:13], v1, off offset:7
.LBB18_91:
	s_or_b64 exec, exec, s[2:3]
	v_and_b32_e32 v1, 0x7c, v0
	v_lshl_add_u32 v1, v11, 2, v1
	s_barrier
	s_barrier
	ds_write2_b32 v1, v2, v3 offset1:1
	ds_write2_b32 v1, v4, v5 offset0:2 offset1:3
	ds_write2_b32 v1, v6, v7 offset0:4 offset1:5
	ds_write2_b32 v1, v8, v9 offset0:6 offset1:7
	v_lshrrev_b32_e32 v1, 3, v0
	v_and_b32_e32 v1, 12, v1
	v_or_b32_e32 v9, 0x80, v0
	v_add_u32_e32 v11, v1, v10
	v_lshrrev_b32_e32 v1, 3, v9
	v_and_b32_e32 v1, 28, v1
	v_or_b32_e32 v8, 0x100, v0
	v_add_u32_e32 v12, v1, v10
	;; [unrolled: 4-line block ×6, first 2 shown]
	v_lshrrev_b32_e32 v1, 3, v4
	v_and_b32_e32 v1, 0x6c, v1
	s_mov_b32 s23, 0
	v_add_u32_e32 v17, v1, v10
	v_or_b32_e32 v1, 0x380, v0
	s_lshl_b64 s[0:1], s[22:23], 2
	v_lshrrev_b32_e32 v2, 3, v1
	s_add_u32 s0, s14, s0
	v_and_b32_e32 v2, 0x7c, v2
	s_addc_u32 s1, s15, s1
	v_add_u32_e32 v18, v2, v10
	v_lshlrev_b32_e32 v2, 2, v0
	v_mov_b32_e32 v3, 0
	v_lshl_add_u64 v[2:3], s[0:1], 0, v[2:3]
	s_and_b64 vcc, exec, s[24:25]
	s_waitcnt lgkmcnt(0)
	s_cbranch_vccz .LBB18_93
; %bb.92:
	s_barrier
	ds_read_b32 v10, v11
	ds_read_b32 v19, v12 offset:512
	ds_read_b32 v20, v13 offset:1024
	;; [unrolled: 1-line block ×7, first 2 shown]
	s_waitcnt lgkmcnt(7)
	global_store_dword v[2:3], v10, off
	s_waitcnt lgkmcnt(6)
	global_store_dword v[2:3], v19, off offset:512
	s_waitcnt lgkmcnt(5)
	global_store_dword v[2:3], v20, off offset:1024
	;; [unrolled: 2-line block ×6, first 2 shown]
	s_mov_b64 s[0:1], -1
	s_cbranch_execz .LBB18_94
	s_branch .LBB18_103
.LBB18_93:
	s_mov_b64 s[0:1], 0
                                        ; implicit-def: $vgpr21
.LBB18_94:
	s_barrier
	s_waitcnt lgkmcnt(0)
	ds_read_b32 v20, v12 offset:512
	ds_read_b32 v19, v13 offset:1024
	;; [unrolled: 1-line block ×7, first 2 shown]
	s_sub_i32 s2, s20, s22
	v_cmp_gt_u32_e32 vcc, s2, v0
	s_and_saveexec_b64 s[0:1], vcc
	s_cbranch_execnz .LBB18_106
; %bb.95:
	s_or_b64 exec, exec, s[0:1]
	v_cmp_gt_u32_e32 vcc, s2, v9
	s_and_saveexec_b64 s[0:1], vcc
	s_cbranch_execnz .LBB18_107
.LBB18_96:
	s_or_b64 exec, exec, s[0:1]
	v_cmp_gt_u32_e32 vcc, s2, v8
	s_and_saveexec_b64 s[0:1], vcc
	s_cbranch_execnz .LBB18_108
.LBB18_97:
	s_or_b64 exec, exec, s[0:1]
	v_cmp_gt_u32_e32 vcc, s2, v7
	s_and_saveexec_b64 s[0:1], vcc
	s_cbranch_execnz .LBB18_109
.LBB18_98:
	s_or_b64 exec, exec, s[0:1]
	v_cmp_gt_u32_e32 vcc, s2, v6
	s_and_saveexec_b64 s[0:1], vcc
	s_cbranch_execnz .LBB18_110
.LBB18_99:
	s_or_b64 exec, exec, s[0:1]
	v_cmp_gt_u32_e32 vcc, s2, v5
	s_and_saveexec_b64 s[0:1], vcc
	s_cbranch_execnz .LBB18_111
.LBB18_100:
	s_or_b64 exec, exec, s[0:1]
	v_cmp_gt_u32_e32 vcc, s2, v4
	s_and_saveexec_b64 s[0:1], vcc
	s_cbranch_execz .LBB18_102
.LBB18_101:
	s_waitcnt lgkmcnt(1)
	global_store_dword v[2:3], v10, off offset:3072
.LBB18_102:
	s_or_b64 exec, exec, s[0:1]
	v_cmp_gt_u32_e64 s[0:1], s2, v1
.LBB18_103:
	s_and_saveexec_b64 s[2:3], s[0:1]
	s_cbranch_execz .LBB18_105
; %bb.104:
	s_waitcnt lgkmcnt(0)
	global_store_dword v[2:3], v21, off offset:3584
.LBB18_105:
	s_endpgm
.LBB18_106:
	ds_read_b32 v0, v11
	s_waitcnt lgkmcnt(0)
	global_store_dword v[2:3], v0, off
	s_or_b64 exec, exec, s[0:1]
	v_cmp_gt_u32_e32 vcc, s2, v9
	s_and_saveexec_b64 s[0:1], vcc
	s_cbranch_execz .LBB18_96
.LBB18_107:
	s_waitcnt lgkmcnt(6)
	global_store_dword v[2:3], v20, off offset:512
	s_or_b64 exec, exec, s[0:1]
	v_cmp_gt_u32_e32 vcc, s2, v8
	s_and_saveexec_b64 s[0:1], vcc
	s_cbranch_execz .LBB18_97
.LBB18_108:
	s_waitcnt lgkmcnt(5)
	global_store_dword v[2:3], v19, off offset:1024
	s_or_b64 exec, exec, s[0:1]
	v_cmp_gt_u32_e32 vcc, s2, v7
	s_and_saveexec_b64 s[0:1], vcc
	s_cbranch_execz .LBB18_98
.LBB18_109:
	s_waitcnt lgkmcnt(4)
	global_store_dword v[2:3], v14, off offset:1536
	s_or_b64 exec, exec, s[0:1]
	v_cmp_gt_u32_e32 vcc, s2, v6
	s_and_saveexec_b64 s[0:1], vcc
	s_cbranch_execz .LBB18_99
.LBB18_110:
	s_waitcnt lgkmcnt(3)
	global_store_dword v[2:3], v13, off offset:2048
	s_or_b64 exec, exec, s[0:1]
	v_cmp_gt_u32_e32 vcc, s2, v5
	s_and_saveexec_b64 s[0:1], vcc
	s_cbranch_execz .LBB18_100
.LBB18_111:
	s_waitcnt lgkmcnt(2)
	global_store_dword v[2:3], v12, off offset:2560
	s_or_b64 exec, exec, s[0:1]
	v_cmp_gt_u32_e32 vcc, s2, v4
	s_and_saveexec_b64 s[0:1], vcc
	s_cbranch_execnz .LBB18_101
	s_branch .LBB18_102
	.section	.rodata,"a",@progbits
	.p2align	6, 0x0
	.amdhsa_kernel _ZN7rocprim17ROCPRIM_304000_NS6detail35device_block_merge_mergepath_kernelINS1_37wrapped_merge_sort_block_merge_configINS0_14default_configEiN2at4cuda3cub6detail10OpaqueTypeILi1EEEEEPiSC_PSA_SD_jNS1_19radix_merge_compareILb0ELb0EiNS0_19identity_decomposerEEEEEvT0_T1_T2_T3_T4_SL_jT5_PKSL_NS1_7vsmem_tE
		.amdhsa_group_segment_fixed_size 4224
		.amdhsa_private_segment_fixed_size 0
		.amdhsa_kernarg_size 320
		.amdhsa_user_sgpr_count 2
		.amdhsa_user_sgpr_dispatch_ptr 0
		.amdhsa_user_sgpr_queue_ptr 0
		.amdhsa_user_sgpr_kernarg_segment_ptr 1
		.amdhsa_user_sgpr_dispatch_id 0
		.amdhsa_user_sgpr_kernarg_preload_length 0
		.amdhsa_user_sgpr_kernarg_preload_offset 0
		.amdhsa_user_sgpr_private_segment_size 0
		.amdhsa_uses_dynamic_stack 0
		.amdhsa_enable_private_segment 0
		.amdhsa_system_sgpr_workgroup_id_x 1
		.amdhsa_system_sgpr_workgroup_id_y 1
		.amdhsa_system_sgpr_workgroup_id_z 1
		.amdhsa_system_sgpr_workgroup_info 0
		.amdhsa_system_vgpr_workitem_id 0
		.amdhsa_next_free_vgpr 35
		.amdhsa_next_free_sgpr 34
		.amdhsa_accum_offset 36
		.amdhsa_reserve_vcc 1
		.amdhsa_float_round_mode_32 0
		.amdhsa_float_round_mode_16_64 0
		.amdhsa_float_denorm_mode_32 3
		.amdhsa_float_denorm_mode_16_64 3
		.amdhsa_dx10_clamp 1
		.amdhsa_ieee_mode 1
		.amdhsa_fp16_overflow 0
		.amdhsa_tg_split 0
		.amdhsa_exception_fp_ieee_invalid_op 0
		.amdhsa_exception_fp_denorm_src 0
		.amdhsa_exception_fp_ieee_div_zero 0
		.amdhsa_exception_fp_ieee_overflow 0
		.amdhsa_exception_fp_ieee_underflow 0
		.amdhsa_exception_fp_ieee_inexact 0
		.amdhsa_exception_int_div_zero 0
	.end_amdhsa_kernel
	.section	.text._ZN7rocprim17ROCPRIM_304000_NS6detail35device_block_merge_mergepath_kernelINS1_37wrapped_merge_sort_block_merge_configINS0_14default_configEiN2at4cuda3cub6detail10OpaqueTypeILi1EEEEEPiSC_PSA_SD_jNS1_19radix_merge_compareILb0ELb0EiNS0_19identity_decomposerEEEEEvT0_T1_T2_T3_T4_SL_jT5_PKSL_NS1_7vsmem_tE,"axG",@progbits,_ZN7rocprim17ROCPRIM_304000_NS6detail35device_block_merge_mergepath_kernelINS1_37wrapped_merge_sort_block_merge_configINS0_14default_configEiN2at4cuda3cub6detail10OpaqueTypeILi1EEEEEPiSC_PSA_SD_jNS1_19radix_merge_compareILb0ELb0EiNS0_19identity_decomposerEEEEEvT0_T1_T2_T3_T4_SL_jT5_PKSL_NS1_7vsmem_tE,comdat
.Lfunc_end18:
	.size	_ZN7rocprim17ROCPRIM_304000_NS6detail35device_block_merge_mergepath_kernelINS1_37wrapped_merge_sort_block_merge_configINS0_14default_configEiN2at4cuda3cub6detail10OpaqueTypeILi1EEEEEPiSC_PSA_SD_jNS1_19radix_merge_compareILb0ELb0EiNS0_19identity_decomposerEEEEEvT0_T1_T2_T3_T4_SL_jT5_PKSL_NS1_7vsmem_tE, .Lfunc_end18-_ZN7rocprim17ROCPRIM_304000_NS6detail35device_block_merge_mergepath_kernelINS1_37wrapped_merge_sort_block_merge_configINS0_14default_configEiN2at4cuda3cub6detail10OpaqueTypeILi1EEEEEPiSC_PSA_SD_jNS1_19radix_merge_compareILb0ELb0EiNS0_19identity_decomposerEEEEEvT0_T1_T2_T3_T4_SL_jT5_PKSL_NS1_7vsmem_tE
                                        ; -- End function
	.set _ZN7rocprim17ROCPRIM_304000_NS6detail35device_block_merge_mergepath_kernelINS1_37wrapped_merge_sort_block_merge_configINS0_14default_configEiN2at4cuda3cub6detail10OpaqueTypeILi1EEEEEPiSC_PSA_SD_jNS1_19radix_merge_compareILb0ELb0EiNS0_19identity_decomposerEEEEEvT0_T1_T2_T3_T4_SL_jT5_PKSL_NS1_7vsmem_tE.num_vgpr, 35
	.set _ZN7rocprim17ROCPRIM_304000_NS6detail35device_block_merge_mergepath_kernelINS1_37wrapped_merge_sort_block_merge_configINS0_14default_configEiN2at4cuda3cub6detail10OpaqueTypeILi1EEEEEPiSC_PSA_SD_jNS1_19radix_merge_compareILb0ELb0EiNS0_19identity_decomposerEEEEEvT0_T1_T2_T3_T4_SL_jT5_PKSL_NS1_7vsmem_tE.num_agpr, 0
	.set _ZN7rocprim17ROCPRIM_304000_NS6detail35device_block_merge_mergepath_kernelINS1_37wrapped_merge_sort_block_merge_configINS0_14default_configEiN2at4cuda3cub6detail10OpaqueTypeILi1EEEEEPiSC_PSA_SD_jNS1_19radix_merge_compareILb0ELb0EiNS0_19identity_decomposerEEEEEvT0_T1_T2_T3_T4_SL_jT5_PKSL_NS1_7vsmem_tE.numbered_sgpr, 34
	.set _ZN7rocprim17ROCPRIM_304000_NS6detail35device_block_merge_mergepath_kernelINS1_37wrapped_merge_sort_block_merge_configINS0_14default_configEiN2at4cuda3cub6detail10OpaqueTypeILi1EEEEEPiSC_PSA_SD_jNS1_19radix_merge_compareILb0ELb0EiNS0_19identity_decomposerEEEEEvT0_T1_T2_T3_T4_SL_jT5_PKSL_NS1_7vsmem_tE.num_named_barrier, 0
	.set _ZN7rocprim17ROCPRIM_304000_NS6detail35device_block_merge_mergepath_kernelINS1_37wrapped_merge_sort_block_merge_configINS0_14default_configEiN2at4cuda3cub6detail10OpaqueTypeILi1EEEEEPiSC_PSA_SD_jNS1_19radix_merge_compareILb0ELb0EiNS0_19identity_decomposerEEEEEvT0_T1_T2_T3_T4_SL_jT5_PKSL_NS1_7vsmem_tE.private_seg_size, 0
	.set _ZN7rocprim17ROCPRIM_304000_NS6detail35device_block_merge_mergepath_kernelINS1_37wrapped_merge_sort_block_merge_configINS0_14default_configEiN2at4cuda3cub6detail10OpaqueTypeILi1EEEEEPiSC_PSA_SD_jNS1_19radix_merge_compareILb0ELb0EiNS0_19identity_decomposerEEEEEvT0_T1_T2_T3_T4_SL_jT5_PKSL_NS1_7vsmem_tE.uses_vcc, 1
	.set _ZN7rocprim17ROCPRIM_304000_NS6detail35device_block_merge_mergepath_kernelINS1_37wrapped_merge_sort_block_merge_configINS0_14default_configEiN2at4cuda3cub6detail10OpaqueTypeILi1EEEEEPiSC_PSA_SD_jNS1_19radix_merge_compareILb0ELb0EiNS0_19identity_decomposerEEEEEvT0_T1_T2_T3_T4_SL_jT5_PKSL_NS1_7vsmem_tE.uses_flat_scratch, 0
	.set _ZN7rocprim17ROCPRIM_304000_NS6detail35device_block_merge_mergepath_kernelINS1_37wrapped_merge_sort_block_merge_configINS0_14default_configEiN2at4cuda3cub6detail10OpaqueTypeILi1EEEEEPiSC_PSA_SD_jNS1_19radix_merge_compareILb0ELb0EiNS0_19identity_decomposerEEEEEvT0_T1_T2_T3_T4_SL_jT5_PKSL_NS1_7vsmem_tE.has_dyn_sized_stack, 0
	.set _ZN7rocprim17ROCPRIM_304000_NS6detail35device_block_merge_mergepath_kernelINS1_37wrapped_merge_sort_block_merge_configINS0_14default_configEiN2at4cuda3cub6detail10OpaqueTypeILi1EEEEEPiSC_PSA_SD_jNS1_19radix_merge_compareILb0ELb0EiNS0_19identity_decomposerEEEEEvT0_T1_T2_T3_T4_SL_jT5_PKSL_NS1_7vsmem_tE.has_recursion, 0
	.set _ZN7rocprim17ROCPRIM_304000_NS6detail35device_block_merge_mergepath_kernelINS1_37wrapped_merge_sort_block_merge_configINS0_14default_configEiN2at4cuda3cub6detail10OpaqueTypeILi1EEEEEPiSC_PSA_SD_jNS1_19radix_merge_compareILb0ELb0EiNS0_19identity_decomposerEEEEEvT0_T1_T2_T3_T4_SL_jT5_PKSL_NS1_7vsmem_tE.has_indirect_call, 0
	.section	.AMDGPU.csdata,"",@progbits
; Kernel info:
; codeLenInByte = 5092
; TotalNumSgprs: 40
; NumVgprs: 35
; NumAgprs: 0
; TotalNumVgprs: 35
; ScratchSize: 0
; MemoryBound: 0
; FloatMode: 240
; IeeeMode: 1
; LDSByteSize: 4224 bytes/workgroup (compile time only)
; SGPRBlocks: 4
; VGPRBlocks: 4
; NumSGPRsForWavesPerEU: 40
; NumVGPRsForWavesPerEU: 35
; AccumOffset: 36
; Occupancy: 8
; WaveLimiterHint : 1
; COMPUTE_PGM_RSRC2:SCRATCH_EN: 0
; COMPUTE_PGM_RSRC2:USER_SGPR: 2
; COMPUTE_PGM_RSRC2:TRAP_HANDLER: 0
; COMPUTE_PGM_RSRC2:TGID_X_EN: 1
; COMPUTE_PGM_RSRC2:TGID_Y_EN: 1
; COMPUTE_PGM_RSRC2:TGID_Z_EN: 1
; COMPUTE_PGM_RSRC2:TIDIG_COMP_CNT: 0
; COMPUTE_PGM_RSRC3_GFX90A:ACCUM_OFFSET: 8
; COMPUTE_PGM_RSRC3_GFX90A:TG_SPLIT: 0
	.section	.text._ZN7rocprim17ROCPRIM_304000_NS6detail33device_block_merge_oddeven_kernelINS1_37wrapped_merge_sort_block_merge_configINS0_14default_configEiN2at4cuda3cub6detail10OpaqueTypeILi1EEEEEPiSC_PSA_SD_jNS1_19radix_merge_compareILb0ELb0EiNS0_19identity_decomposerEEEEEvT0_T1_T2_T3_T4_SL_T5_,"axG",@progbits,_ZN7rocprim17ROCPRIM_304000_NS6detail33device_block_merge_oddeven_kernelINS1_37wrapped_merge_sort_block_merge_configINS0_14default_configEiN2at4cuda3cub6detail10OpaqueTypeILi1EEEEEPiSC_PSA_SD_jNS1_19radix_merge_compareILb0ELb0EiNS0_19identity_decomposerEEEEEvT0_T1_T2_T3_T4_SL_T5_,comdat
	.protected	_ZN7rocprim17ROCPRIM_304000_NS6detail33device_block_merge_oddeven_kernelINS1_37wrapped_merge_sort_block_merge_configINS0_14default_configEiN2at4cuda3cub6detail10OpaqueTypeILi1EEEEEPiSC_PSA_SD_jNS1_19radix_merge_compareILb0ELb0EiNS0_19identity_decomposerEEEEEvT0_T1_T2_T3_T4_SL_T5_ ; -- Begin function _ZN7rocprim17ROCPRIM_304000_NS6detail33device_block_merge_oddeven_kernelINS1_37wrapped_merge_sort_block_merge_configINS0_14default_configEiN2at4cuda3cub6detail10OpaqueTypeILi1EEEEEPiSC_PSA_SD_jNS1_19radix_merge_compareILb0ELb0EiNS0_19identity_decomposerEEEEEvT0_T1_T2_T3_T4_SL_T5_
	.globl	_ZN7rocprim17ROCPRIM_304000_NS6detail33device_block_merge_oddeven_kernelINS1_37wrapped_merge_sort_block_merge_configINS0_14default_configEiN2at4cuda3cub6detail10OpaqueTypeILi1EEEEEPiSC_PSA_SD_jNS1_19radix_merge_compareILb0ELb0EiNS0_19identity_decomposerEEEEEvT0_T1_T2_T3_T4_SL_T5_
	.p2align	8
	.type	_ZN7rocprim17ROCPRIM_304000_NS6detail33device_block_merge_oddeven_kernelINS1_37wrapped_merge_sort_block_merge_configINS0_14default_configEiN2at4cuda3cub6detail10OpaqueTypeILi1EEEEEPiSC_PSA_SD_jNS1_19radix_merge_compareILb0ELb0EiNS0_19identity_decomposerEEEEEvT0_T1_T2_T3_T4_SL_T5_,@function
_ZN7rocprim17ROCPRIM_304000_NS6detail33device_block_merge_oddeven_kernelINS1_37wrapped_merge_sort_block_merge_configINS0_14default_configEiN2at4cuda3cub6detail10OpaqueTypeILi1EEEEEPiSC_PSA_SD_jNS1_19radix_merge_compareILb0ELb0EiNS0_19identity_decomposerEEEEEvT0_T1_T2_T3_T4_SL_T5_: ; @_ZN7rocprim17ROCPRIM_304000_NS6detail33device_block_merge_oddeven_kernelINS1_37wrapped_merge_sort_block_merge_configINS0_14default_configEiN2at4cuda3cub6detail10OpaqueTypeILi1EEEEEPiSC_PSA_SD_jNS1_19radix_merge_compareILb0ELb0EiNS0_19identity_decomposerEEEEEvT0_T1_T2_T3_T4_SL_T5_
; %bb.0:
	s_load_dwordx2 s[16:17], s[0:1], 0x20
	s_waitcnt lgkmcnt(0)
	s_lshr_b32 s3, s16, 8
	s_cmp_eq_u32 s2, s3
	s_cselect_b64 s[6:7], -1, 0
	s_cmp_lg_u32 s2, s3
	s_cselect_b64 s[8:9], -1, 0
	s_lshl_b32 s18, s2, 8
	s_sub_i32 s3, s16, s18
	v_cmp_gt_u32_e64 s[4:5], s3, v0
	s_or_b64 s[8:9], s[8:9], s[4:5]
	s_and_saveexec_b64 s[10:11], s[8:9]
	s_cbranch_execz .LBB19_24
; %bb.1:
	s_load_dwordx8 s[8:15], s[0:1], 0x0
	s_mov_b32 s19, 0
	s_lshl_b64 s[0:1], s[18:19], 2
	v_lshlrev_b32_e32 v1, 2, v0
	s_waitcnt lgkmcnt(0)
	s_add_u32 s0, s8, s0
	s_addc_u32 s1, s9, s1
	s_add_u32 s12, s12, s18
	s_addc_u32 s13, s13, 0
	global_load_ubyte v2, v0, s[12:13]
	global_load_dword v3, v1, s[0:1]
	s_lshr_b32 s0, s17, 8
	s_sub_i32 s1, 0, s0
	s_and_b32 s1, s2, s1
	s_and_b32 s0, s1, s0
	s_lshl_b32 s19, s1, 8
	s_sub_i32 s12, 0, s17
	s_cmp_eq_u32 s0, 0
	s_cselect_b64 s[0:1], -1, 0
	s_and_b64 s[2:3], s[0:1], exec
	s_cselect_b32 s12, s17, s12
	s_add_i32 s12, s12, s19
	s_mov_b64 s[2:3], -1
	s_cmp_gt_u32 s16, s12
	v_add_u32_e32 v0, s18, v0
	s_cbranch_scc1 .LBB19_9
; %bb.2:
	s_and_b64 vcc, exec, s[6:7]
	s_cbranch_vccz .LBB19_6
; %bb.3:
	v_cmp_gt_u32_e32 vcc, s16, v0
	s_and_saveexec_b64 s[2:3], vcc
	s_cbranch_execz .LBB19_5
; %bb.4:
	v_mov_b32_e32 v1, 0
	v_lshl_add_u64 v[4:5], v[0:1], 2, s[10:11]
	s_waitcnt vmcnt(0)
	global_store_dword v[4:5], v3, off
	global_store_byte v0, v2, s[14:15]
.LBB19_5:
	s_or_b64 exec, exec, s[2:3]
	s_mov_b64 s[2:3], 0
.LBB19_6:
	s_andn2_b64 vcc, exec, s[2:3]
	s_cbranch_vccnz .LBB19_8
; %bb.7:
	v_mov_b32_e32 v1, 0
	v_lshl_add_u64 v[4:5], v[0:1], 2, s[10:11]
	s_waitcnt vmcnt(0)
	global_store_dword v[4:5], v3, off
	global_store_byte v0, v2, s[14:15]
.LBB19_8:
	s_mov_b64 s[2:3], 0
.LBB19_9:
	s_andn2_b64 vcc, exec, s[2:3]
	s_cbranch_vccnz .LBB19_24
; %bb.10:
	s_min_u32 s13, s12, s16
	s_add_i32 s2, s13, s17
	s_min_u32 s16, s2, s16
	s_min_u32 s2, s19, s13
	s_add_i32 s19, s19, s13
	v_subrev_u32_e32 v0, s19, v0
	v_add_u32_e32 v4, s2, v0
	s_andn2_b64 vcc, exec, s[6:7]
	s_mov_b64 s[2:3], -1
	s_cbranch_vccnz .LBB19_18
; %bb.11:
	s_and_saveexec_b64 s[2:3], s[4:5]
	s_cbranch_execz .LBB19_17
; %bb.12:
	s_cmp_ge_u32 s12, s16
	v_mov_b32_e32 v5, s13
	s_cbranch_scc1 .LBB19_16
; %bb.13:
	s_mov_b64 s[4:5], 0
	v_mov_b32_e32 v6, s16
	v_mov_b32_e32 v5, s13
	;; [unrolled: 1-line block ×3, first 2 shown]
.LBB19_14:                              ; =>This Inner Loop Header: Depth=1
	v_add_u32_e32 v0, v5, v6
	v_lshrrev_b32_e32 v0, 1, v0
	v_lshl_add_u64 v[8:9], v[0:1], 2, s[8:9]
	global_load_dword v7, v[8:9], off
	v_add_u32_e32 v8, 1, v0
	s_waitcnt vmcnt(0)
	v_cmp_gt_i32_e32 vcc, v3, v7
	s_nop 1
	v_cndmask_b32_e64 v9, 0, 1, vcc
	v_cmp_le_i32_e32 vcc, v7, v3
	s_nop 1
	v_cndmask_b32_e64 v7, 0, 1, vcc
	v_cndmask_b32_e64 v7, v7, v9, s[0:1]
	v_and_b32_e32 v7, 1, v7
	v_cmp_eq_u32_e32 vcc, 1, v7
	s_nop 1
	v_cndmask_b32_e32 v6, v0, v6, vcc
	v_cndmask_b32_e32 v5, v5, v8, vcc
	v_cmp_ge_u32_e32 vcc, v5, v6
	s_or_b64 s[4:5], vcc, s[4:5]
	s_andn2_b64 exec, exec, s[4:5]
	s_cbranch_execnz .LBB19_14
; %bb.15:
	s_or_b64 exec, exec, s[4:5]
.LBB19_16:
	v_add_u32_e32 v0, v5, v4
	v_mov_b32_e32 v1, 0
	v_lshl_add_u64 v[6:7], v[0:1], 2, s[10:11]
	s_waitcnt vmcnt(0)
	global_store_dword v[6:7], v3, off
	global_store_byte v0, v2, s[14:15]
.LBB19_17:
	s_or_b64 exec, exec, s[2:3]
	s_mov_b64 s[2:3], 0
.LBB19_18:
	s_andn2_b64 vcc, exec, s[2:3]
	s_cbranch_vccnz .LBB19_24
; %bb.19:
	s_cmp_ge_u32 s12, s16
	v_mov_b32_e32 v5, s13
	s_cbranch_scc1 .LBB19_23
; %bb.20:
	s_mov_b64 s[2:3], 0
	v_mov_b32_e32 v6, s16
	v_mov_b32_e32 v5, s13
	;; [unrolled: 1-line block ×3, first 2 shown]
.LBB19_21:                              ; =>This Inner Loop Header: Depth=1
	v_add_u32_e32 v0, v5, v6
	v_lshrrev_b32_e32 v0, 1, v0
	v_lshl_add_u64 v[8:9], v[0:1], 2, s[8:9]
	global_load_dword v7, v[8:9], off
	v_add_u32_e32 v8, 1, v0
	s_waitcnt vmcnt(0)
	v_cmp_gt_i32_e32 vcc, v3, v7
	s_nop 1
	v_cndmask_b32_e64 v9, 0, 1, vcc
	v_cmp_le_i32_e32 vcc, v7, v3
	s_nop 1
	v_cndmask_b32_e64 v7, 0, 1, vcc
	v_cndmask_b32_e64 v7, v7, v9, s[0:1]
	v_and_b32_e32 v7, 1, v7
	v_cmp_eq_u32_e32 vcc, 1, v7
	s_nop 1
	v_cndmask_b32_e32 v6, v0, v6, vcc
	v_cndmask_b32_e32 v5, v5, v8, vcc
	v_cmp_ge_u32_e32 vcc, v5, v6
	s_or_b64 s[2:3], vcc, s[2:3]
	s_andn2_b64 exec, exec, s[2:3]
	s_cbranch_execnz .LBB19_21
; %bb.22:
	s_or_b64 exec, exec, s[2:3]
.LBB19_23:
	v_add_u32_e32 v0, v5, v4
	v_mov_b32_e32 v1, 0
	v_lshl_add_u64 v[4:5], v[0:1], 2, s[10:11]
	s_waitcnt vmcnt(0)
	global_store_dword v[4:5], v3, off
	global_store_byte v0, v2, s[14:15]
.LBB19_24:
	s_endpgm
	.section	.rodata,"a",@progbits
	.p2align	6, 0x0
	.amdhsa_kernel _ZN7rocprim17ROCPRIM_304000_NS6detail33device_block_merge_oddeven_kernelINS1_37wrapped_merge_sort_block_merge_configINS0_14default_configEiN2at4cuda3cub6detail10OpaqueTypeILi1EEEEEPiSC_PSA_SD_jNS1_19radix_merge_compareILb0ELb0EiNS0_19identity_decomposerEEEEEvT0_T1_T2_T3_T4_SL_T5_
		.amdhsa_group_segment_fixed_size 0
		.amdhsa_private_segment_fixed_size 0
		.amdhsa_kernarg_size 44
		.amdhsa_user_sgpr_count 2
		.amdhsa_user_sgpr_dispatch_ptr 0
		.amdhsa_user_sgpr_queue_ptr 0
		.amdhsa_user_sgpr_kernarg_segment_ptr 1
		.amdhsa_user_sgpr_dispatch_id 0
		.amdhsa_user_sgpr_kernarg_preload_length 0
		.amdhsa_user_sgpr_kernarg_preload_offset 0
		.amdhsa_user_sgpr_private_segment_size 0
		.amdhsa_uses_dynamic_stack 0
		.amdhsa_enable_private_segment 0
		.amdhsa_system_sgpr_workgroup_id_x 1
		.amdhsa_system_sgpr_workgroup_id_y 0
		.amdhsa_system_sgpr_workgroup_id_z 0
		.amdhsa_system_sgpr_workgroup_info 0
		.amdhsa_system_vgpr_workitem_id 0
		.amdhsa_next_free_vgpr 10
		.amdhsa_next_free_sgpr 20
		.amdhsa_accum_offset 12
		.amdhsa_reserve_vcc 1
		.amdhsa_float_round_mode_32 0
		.amdhsa_float_round_mode_16_64 0
		.amdhsa_float_denorm_mode_32 3
		.amdhsa_float_denorm_mode_16_64 3
		.amdhsa_dx10_clamp 1
		.amdhsa_ieee_mode 1
		.amdhsa_fp16_overflow 0
		.amdhsa_tg_split 0
		.amdhsa_exception_fp_ieee_invalid_op 0
		.amdhsa_exception_fp_denorm_src 0
		.amdhsa_exception_fp_ieee_div_zero 0
		.amdhsa_exception_fp_ieee_overflow 0
		.amdhsa_exception_fp_ieee_underflow 0
		.amdhsa_exception_fp_ieee_inexact 0
		.amdhsa_exception_int_div_zero 0
	.end_amdhsa_kernel
	.section	.text._ZN7rocprim17ROCPRIM_304000_NS6detail33device_block_merge_oddeven_kernelINS1_37wrapped_merge_sort_block_merge_configINS0_14default_configEiN2at4cuda3cub6detail10OpaqueTypeILi1EEEEEPiSC_PSA_SD_jNS1_19radix_merge_compareILb0ELb0EiNS0_19identity_decomposerEEEEEvT0_T1_T2_T3_T4_SL_T5_,"axG",@progbits,_ZN7rocprim17ROCPRIM_304000_NS6detail33device_block_merge_oddeven_kernelINS1_37wrapped_merge_sort_block_merge_configINS0_14default_configEiN2at4cuda3cub6detail10OpaqueTypeILi1EEEEEPiSC_PSA_SD_jNS1_19radix_merge_compareILb0ELb0EiNS0_19identity_decomposerEEEEEvT0_T1_T2_T3_T4_SL_T5_,comdat
.Lfunc_end19:
	.size	_ZN7rocprim17ROCPRIM_304000_NS6detail33device_block_merge_oddeven_kernelINS1_37wrapped_merge_sort_block_merge_configINS0_14default_configEiN2at4cuda3cub6detail10OpaqueTypeILi1EEEEEPiSC_PSA_SD_jNS1_19radix_merge_compareILb0ELb0EiNS0_19identity_decomposerEEEEEvT0_T1_T2_T3_T4_SL_T5_, .Lfunc_end19-_ZN7rocprim17ROCPRIM_304000_NS6detail33device_block_merge_oddeven_kernelINS1_37wrapped_merge_sort_block_merge_configINS0_14default_configEiN2at4cuda3cub6detail10OpaqueTypeILi1EEEEEPiSC_PSA_SD_jNS1_19radix_merge_compareILb0ELb0EiNS0_19identity_decomposerEEEEEvT0_T1_T2_T3_T4_SL_T5_
                                        ; -- End function
	.set _ZN7rocprim17ROCPRIM_304000_NS6detail33device_block_merge_oddeven_kernelINS1_37wrapped_merge_sort_block_merge_configINS0_14default_configEiN2at4cuda3cub6detail10OpaqueTypeILi1EEEEEPiSC_PSA_SD_jNS1_19radix_merge_compareILb0ELb0EiNS0_19identity_decomposerEEEEEvT0_T1_T2_T3_T4_SL_T5_.num_vgpr, 10
	.set _ZN7rocprim17ROCPRIM_304000_NS6detail33device_block_merge_oddeven_kernelINS1_37wrapped_merge_sort_block_merge_configINS0_14default_configEiN2at4cuda3cub6detail10OpaqueTypeILi1EEEEEPiSC_PSA_SD_jNS1_19radix_merge_compareILb0ELb0EiNS0_19identity_decomposerEEEEEvT0_T1_T2_T3_T4_SL_T5_.num_agpr, 0
	.set _ZN7rocprim17ROCPRIM_304000_NS6detail33device_block_merge_oddeven_kernelINS1_37wrapped_merge_sort_block_merge_configINS0_14default_configEiN2at4cuda3cub6detail10OpaqueTypeILi1EEEEEPiSC_PSA_SD_jNS1_19radix_merge_compareILb0ELb0EiNS0_19identity_decomposerEEEEEvT0_T1_T2_T3_T4_SL_T5_.numbered_sgpr, 20
	.set _ZN7rocprim17ROCPRIM_304000_NS6detail33device_block_merge_oddeven_kernelINS1_37wrapped_merge_sort_block_merge_configINS0_14default_configEiN2at4cuda3cub6detail10OpaqueTypeILi1EEEEEPiSC_PSA_SD_jNS1_19radix_merge_compareILb0ELb0EiNS0_19identity_decomposerEEEEEvT0_T1_T2_T3_T4_SL_T5_.num_named_barrier, 0
	.set _ZN7rocprim17ROCPRIM_304000_NS6detail33device_block_merge_oddeven_kernelINS1_37wrapped_merge_sort_block_merge_configINS0_14default_configEiN2at4cuda3cub6detail10OpaqueTypeILi1EEEEEPiSC_PSA_SD_jNS1_19radix_merge_compareILb0ELb0EiNS0_19identity_decomposerEEEEEvT0_T1_T2_T3_T4_SL_T5_.private_seg_size, 0
	.set _ZN7rocprim17ROCPRIM_304000_NS6detail33device_block_merge_oddeven_kernelINS1_37wrapped_merge_sort_block_merge_configINS0_14default_configEiN2at4cuda3cub6detail10OpaqueTypeILi1EEEEEPiSC_PSA_SD_jNS1_19radix_merge_compareILb0ELb0EiNS0_19identity_decomposerEEEEEvT0_T1_T2_T3_T4_SL_T5_.uses_vcc, 1
	.set _ZN7rocprim17ROCPRIM_304000_NS6detail33device_block_merge_oddeven_kernelINS1_37wrapped_merge_sort_block_merge_configINS0_14default_configEiN2at4cuda3cub6detail10OpaqueTypeILi1EEEEEPiSC_PSA_SD_jNS1_19radix_merge_compareILb0ELb0EiNS0_19identity_decomposerEEEEEvT0_T1_T2_T3_T4_SL_T5_.uses_flat_scratch, 0
	.set _ZN7rocprim17ROCPRIM_304000_NS6detail33device_block_merge_oddeven_kernelINS1_37wrapped_merge_sort_block_merge_configINS0_14default_configEiN2at4cuda3cub6detail10OpaqueTypeILi1EEEEEPiSC_PSA_SD_jNS1_19radix_merge_compareILb0ELb0EiNS0_19identity_decomposerEEEEEvT0_T1_T2_T3_T4_SL_T5_.has_dyn_sized_stack, 0
	.set _ZN7rocprim17ROCPRIM_304000_NS6detail33device_block_merge_oddeven_kernelINS1_37wrapped_merge_sort_block_merge_configINS0_14default_configEiN2at4cuda3cub6detail10OpaqueTypeILi1EEEEEPiSC_PSA_SD_jNS1_19radix_merge_compareILb0ELb0EiNS0_19identity_decomposerEEEEEvT0_T1_T2_T3_T4_SL_T5_.has_recursion, 0
	.set _ZN7rocprim17ROCPRIM_304000_NS6detail33device_block_merge_oddeven_kernelINS1_37wrapped_merge_sort_block_merge_configINS0_14default_configEiN2at4cuda3cub6detail10OpaqueTypeILi1EEEEEPiSC_PSA_SD_jNS1_19radix_merge_compareILb0ELb0EiNS0_19identity_decomposerEEEEEvT0_T1_T2_T3_T4_SL_T5_.has_indirect_call, 0
	.section	.AMDGPU.csdata,"",@progbits
; Kernel info:
; codeLenInByte = 708
; TotalNumSgprs: 26
; NumVgprs: 10
; NumAgprs: 0
; TotalNumVgprs: 10
; ScratchSize: 0
; MemoryBound: 0
; FloatMode: 240
; IeeeMode: 1
; LDSByteSize: 0 bytes/workgroup (compile time only)
; SGPRBlocks: 3
; VGPRBlocks: 1
; NumSGPRsForWavesPerEU: 26
; NumVGPRsForWavesPerEU: 10
; AccumOffset: 12
; Occupancy: 8
; WaveLimiterHint : 0
; COMPUTE_PGM_RSRC2:SCRATCH_EN: 0
; COMPUTE_PGM_RSRC2:USER_SGPR: 2
; COMPUTE_PGM_RSRC2:TRAP_HANDLER: 0
; COMPUTE_PGM_RSRC2:TGID_X_EN: 1
; COMPUTE_PGM_RSRC2:TGID_Y_EN: 0
; COMPUTE_PGM_RSRC2:TGID_Z_EN: 0
; COMPUTE_PGM_RSRC2:TIDIG_COMP_CNT: 0
; COMPUTE_PGM_RSRC3_GFX90A:ACCUM_OFFSET: 2
; COMPUTE_PGM_RSRC3_GFX90A:TG_SPLIT: 0
	.section	.text._ZN7rocprim17ROCPRIM_304000_NS6detail45device_block_merge_mergepath_partition_kernelINS1_37wrapped_merge_sort_block_merge_configINS0_14default_configEiN2at4cuda3cub6detail10OpaqueTypeILi1EEEEEPijNS1_19radix_merge_compareILb0ELb1EiNS0_19identity_decomposerEEEEEvT0_T1_jPSH_T2_SH_,"axG",@progbits,_ZN7rocprim17ROCPRIM_304000_NS6detail45device_block_merge_mergepath_partition_kernelINS1_37wrapped_merge_sort_block_merge_configINS0_14default_configEiN2at4cuda3cub6detail10OpaqueTypeILi1EEEEEPijNS1_19radix_merge_compareILb0ELb1EiNS0_19identity_decomposerEEEEEvT0_T1_jPSH_T2_SH_,comdat
	.protected	_ZN7rocprim17ROCPRIM_304000_NS6detail45device_block_merge_mergepath_partition_kernelINS1_37wrapped_merge_sort_block_merge_configINS0_14default_configEiN2at4cuda3cub6detail10OpaqueTypeILi1EEEEEPijNS1_19radix_merge_compareILb0ELb1EiNS0_19identity_decomposerEEEEEvT0_T1_jPSH_T2_SH_ ; -- Begin function _ZN7rocprim17ROCPRIM_304000_NS6detail45device_block_merge_mergepath_partition_kernelINS1_37wrapped_merge_sort_block_merge_configINS0_14default_configEiN2at4cuda3cub6detail10OpaqueTypeILi1EEEEEPijNS1_19radix_merge_compareILb0ELb1EiNS0_19identity_decomposerEEEEEvT0_T1_jPSH_T2_SH_
	.globl	_ZN7rocprim17ROCPRIM_304000_NS6detail45device_block_merge_mergepath_partition_kernelINS1_37wrapped_merge_sort_block_merge_configINS0_14default_configEiN2at4cuda3cub6detail10OpaqueTypeILi1EEEEEPijNS1_19radix_merge_compareILb0ELb1EiNS0_19identity_decomposerEEEEEvT0_T1_jPSH_T2_SH_
	.p2align	8
	.type	_ZN7rocprim17ROCPRIM_304000_NS6detail45device_block_merge_mergepath_partition_kernelINS1_37wrapped_merge_sort_block_merge_configINS0_14default_configEiN2at4cuda3cub6detail10OpaqueTypeILi1EEEEEPijNS1_19radix_merge_compareILb0ELb1EiNS0_19identity_decomposerEEEEEvT0_T1_jPSH_T2_SH_,@function
_ZN7rocprim17ROCPRIM_304000_NS6detail45device_block_merge_mergepath_partition_kernelINS1_37wrapped_merge_sort_block_merge_configINS0_14default_configEiN2at4cuda3cub6detail10OpaqueTypeILi1EEEEEPijNS1_19radix_merge_compareILb0ELb1EiNS0_19identity_decomposerEEEEEvT0_T1_jPSH_T2_SH_: ; @_ZN7rocprim17ROCPRIM_304000_NS6detail45device_block_merge_mergepath_partition_kernelINS1_37wrapped_merge_sort_block_merge_configINS0_14default_configEiN2at4cuda3cub6detail10OpaqueTypeILi1EEEEEPijNS1_19radix_merge_compareILb0ELb1EiNS0_19identity_decomposerEEEEEvT0_T1_jPSH_T2_SH_
; %bb.0:
	s_load_dwordx2 s[4:5], s[0:1], 0x8
	v_lshl_or_b32 v0, s2, 7, v0
	s_waitcnt lgkmcnt(0)
	v_cmp_gt_u32_e32 vcc, s5, v0
	s_and_saveexec_b64 s[2:3], vcc
	s_cbranch_execz .LBB20_6
; %bb.1:
	s_load_dwordx2 s[2:3], s[0:1], 0x18
	s_waitcnt lgkmcnt(0)
	s_lshr_b32 s5, s3, 9
	s_and_b32 s5, s5, 0x7ffffe
	s_add_i32 s6, s5, -1
	s_sub_i32 s5, 0, s5
	v_and_b32_e32 v1, s5, v0
	v_and_b32_e32 v2, s6, v0
	v_lshlrev_b32_e32 v1, 10, v1
	v_lshlrev_b32_e32 v3, 10, v2
	v_min_u32_e32 v2, s4, v1
	v_add_u32_e32 v1, s3, v1
	v_min_u32_e32 v4, s4, v1
	v_add_u32_e32 v1, s3, v4
	v_min_u32_e32 v1, s4, v1
	v_sub_u32_e32 v5, v1, v2
	v_min_u32_e32 v10, v5, v3
	v_sub_u32_e32 v3, v4, v2
	v_sub_u32_e32 v1, v1, v4
	v_sub_u32_e64 v1, v10, v1 clamp
	v_min_u32_e32 v11, v10, v3
	v_cmp_lt_u32_e32 vcc, v1, v11
	s_and_saveexec_b64 s[4:5], vcc
	s_cbranch_execz .LBB20_5
; %bb.2:
	s_load_dwordx2 s[6:7], s[0:1], 0x0
	v_mov_b32_e32 v5, 0
	v_mov_b32_e32 v3, v5
	s_waitcnt lgkmcnt(0)
	v_lshl_add_u64 v[6:7], v[2:3], 2, s[6:7]
	v_lshl_add_u64 v[8:9], v[4:5], 2, s[6:7]
	s_mov_b64 s[6:7], 0
.LBB20_3:                               ; =>This Inner Loop Header: Depth=1
	v_add_u32_e32 v3, v11, v1
	v_lshrrev_b32_e32 v4, 1, v3
	v_mov_b32_e32 v13, v5
	v_xad_u32 v12, v4, -1, v10
	v_lshl_add_u64 v[14:15], v[4:5], 2, v[6:7]
	v_lshl_add_u64 v[12:13], v[12:13], 2, v[8:9]
	global_load_dword v3, v[14:15], off
	global_load_dword v16, v[12:13], off
	v_add_u32_e32 v12, 1, v4
	s_waitcnt vmcnt(1)
	v_and_b32_e32 v3, s2, v3
	s_waitcnt vmcnt(0)
	v_and_b32_e32 v13, s2, v16
	v_cmp_gt_i32_e32 vcc, v3, v13
	s_nop 1
	v_cndmask_b32_e32 v11, v11, v4, vcc
	v_cndmask_b32_e32 v1, v12, v1, vcc
	v_cmp_ge_u32_e32 vcc, v1, v11
	s_or_b64 s[6:7], vcc, s[6:7]
	s_andn2_b64 exec, exec, s[6:7]
	s_cbranch_execnz .LBB20_3
; %bb.4:
	s_or_b64 exec, exec, s[6:7]
.LBB20_5:
	s_or_b64 exec, exec, s[4:5]
	s_load_dwordx2 s[0:1], s[0:1], 0x10
	v_add_u32_e32 v2, v1, v2
	v_mov_b32_e32 v1, 0
	s_waitcnt lgkmcnt(0)
	v_lshl_add_u64 v[0:1], v[0:1], 2, s[0:1]
	global_store_dword v[0:1], v2, off
.LBB20_6:
	s_endpgm
	.section	.rodata,"a",@progbits
	.p2align	6, 0x0
	.amdhsa_kernel _ZN7rocprim17ROCPRIM_304000_NS6detail45device_block_merge_mergepath_partition_kernelINS1_37wrapped_merge_sort_block_merge_configINS0_14default_configEiN2at4cuda3cub6detail10OpaqueTypeILi1EEEEEPijNS1_19radix_merge_compareILb0ELb1EiNS0_19identity_decomposerEEEEEvT0_T1_jPSH_T2_SH_
		.amdhsa_group_segment_fixed_size 0
		.amdhsa_private_segment_fixed_size 0
		.amdhsa_kernarg_size 32
		.amdhsa_user_sgpr_count 2
		.amdhsa_user_sgpr_dispatch_ptr 0
		.amdhsa_user_sgpr_queue_ptr 0
		.amdhsa_user_sgpr_kernarg_segment_ptr 1
		.amdhsa_user_sgpr_dispatch_id 0
		.amdhsa_user_sgpr_kernarg_preload_length 0
		.amdhsa_user_sgpr_kernarg_preload_offset 0
		.amdhsa_user_sgpr_private_segment_size 0
		.amdhsa_uses_dynamic_stack 0
		.amdhsa_enable_private_segment 0
		.amdhsa_system_sgpr_workgroup_id_x 1
		.amdhsa_system_sgpr_workgroup_id_y 0
		.amdhsa_system_sgpr_workgroup_id_z 0
		.amdhsa_system_sgpr_workgroup_info 0
		.amdhsa_system_vgpr_workitem_id 0
		.amdhsa_next_free_vgpr 17
		.amdhsa_next_free_sgpr 8
		.amdhsa_accum_offset 20
		.amdhsa_reserve_vcc 1
		.amdhsa_float_round_mode_32 0
		.amdhsa_float_round_mode_16_64 0
		.amdhsa_float_denorm_mode_32 3
		.amdhsa_float_denorm_mode_16_64 3
		.amdhsa_dx10_clamp 1
		.amdhsa_ieee_mode 1
		.amdhsa_fp16_overflow 0
		.amdhsa_tg_split 0
		.amdhsa_exception_fp_ieee_invalid_op 0
		.amdhsa_exception_fp_denorm_src 0
		.amdhsa_exception_fp_ieee_div_zero 0
		.amdhsa_exception_fp_ieee_overflow 0
		.amdhsa_exception_fp_ieee_underflow 0
		.amdhsa_exception_fp_ieee_inexact 0
		.amdhsa_exception_int_div_zero 0
	.end_amdhsa_kernel
	.section	.text._ZN7rocprim17ROCPRIM_304000_NS6detail45device_block_merge_mergepath_partition_kernelINS1_37wrapped_merge_sort_block_merge_configINS0_14default_configEiN2at4cuda3cub6detail10OpaqueTypeILi1EEEEEPijNS1_19radix_merge_compareILb0ELb1EiNS0_19identity_decomposerEEEEEvT0_T1_jPSH_T2_SH_,"axG",@progbits,_ZN7rocprim17ROCPRIM_304000_NS6detail45device_block_merge_mergepath_partition_kernelINS1_37wrapped_merge_sort_block_merge_configINS0_14default_configEiN2at4cuda3cub6detail10OpaqueTypeILi1EEEEEPijNS1_19radix_merge_compareILb0ELb1EiNS0_19identity_decomposerEEEEEvT0_T1_jPSH_T2_SH_,comdat
.Lfunc_end20:
	.size	_ZN7rocprim17ROCPRIM_304000_NS6detail45device_block_merge_mergepath_partition_kernelINS1_37wrapped_merge_sort_block_merge_configINS0_14default_configEiN2at4cuda3cub6detail10OpaqueTypeILi1EEEEEPijNS1_19radix_merge_compareILb0ELb1EiNS0_19identity_decomposerEEEEEvT0_T1_jPSH_T2_SH_, .Lfunc_end20-_ZN7rocprim17ROCPRIM_304000_NS6detail45device_block_merge_mergepath_partition_kernelINS1_37wrapped_merge_sort_block_merge_configINS0_14default_configEiN2at4cuda3cub6detail10OpaqueTypeILi1EEEEEPijNS1_19radix_merge_compareILb0ELb1EiNS0_19identity_decomposerEEEEEvT0_T1_jPSH_T2_SH_
                                        ; -- End function
	.set _ZN7rocprim17ROCPRIM_304000_NS6detail45device_block_merge_mergepath_partition_kernelINS1_37wrapped_merge_sort_block_merge_configINS0_14default_configEiN2at4cuda3cub6detail10OpaqueTypeILi1EEEEEPijNS1_19radix_merge_compareILb0ELb1EiNS0_19identity_decomposerEEEEEvT0_T1_jPSH_T2_SH_.num_vgpr, 17
	.set _ZN7rocprim17ROCPRIM_304000_NS6detail45device_block_merge_mergepath_partition_kernelINS1_37wrapped_merge_sort_block_merge_configINS0_14default_configEiN2at4cuda3cub6detail10OpaqueTypeILi1EEEEEPijNS1_19radix_merge_compareILb0ELb1EiNS0_19identity_decomposerEEEEEvT0_T1_jPSH_T2_SH_.num_agpr, 0
	.set _ZN7rocprim17ROCPRIM_304000_NS6detail45device_block_merge_mergepath_partition_kernelINS1_37wrapped_merge_sort_block_merge_configINS0_14default_configEiN2at4cuda3cub6detail10OpaqueTypeILi1EEEEEPijNS1_19radix_merge_compareILb0ELb1EiNS0_19identity_decomposerEEEEEvT0_T1_jPSH_T2_SH_.numbered_sgpr, 8
	.set _ZN7rocprim17ROCPRIM_304000_NS6detail45device_block_merge_mergepath_partition_kernelINS1_37wrapped_merge_sort_block_merge_configINS0_14default_configEiN2at4cuda3cub6detail10OpaqueTypeILi1EEEEEPijNS1_19radix_merge_compareILb0ELb1EiNS0_19identity_decomposerEEEEEvT0_T1_jPSH_T2_SH_.num_named_barrier, 0
	.set _ZN7rocprim17ROCPRIM_304000_NS6detail45device_block_merge_mergepath_partition_kernelINS1_37wrapped_merge_sort_block_merge_configINS0_14default_configEiN2at4cuda3cub6detail10OpaqueTypeILi1EEEEEPijNS1_19radix_merge_compareILb0ELb1EiNS0_19identity_decomposerEEEEEvT0_T1_jPSH_T2_SH_.private_seg_size, 0
	.set _ZN7rocprim17ROCPRIM_304000_NS6detail45device_block_merge_mergepath_partition_kernelINS1_37wrapped_merge_sort_block_merge_configINS0_14default_configEiN2at4cuda3cub6detail10OpaqueTypeILi1EEEEEPijNS1_19radix_merge_compareILb0ELb1EiNS0_19identity_decomposerEEEEEvT0_T1_jPSH_T2_SH_.uses_vcc, 1
	.set _ZN7rocprim17ROCPRIM_304000_NS6detail45device_block_merge_mergepath_partition_kernelINS1_37wrapped_merge_sort_block_merge_configINS0_14default_configEiN2at4cuda3cub6detail10OpaqueTypeILi1EEEEEPijNS1_19radix_merge_compareILb0ELb1EiNS0_19identity_decomposerEEEEEvT0_T1_jPSH_T2_SH_.uses_flat_scratch, 0
	.set _ZN7rocprim17ROCPRIM_304000_NS6detail45device_block_merge_mergepath_partition_kernelINS1_37wrapped_merge_sort_block_merge_configINS0_14default_configEiN2at4cuda3cub6detail10OpaqueTypeILi1EEEEEPijNS1_19radix_merge_compareILb0ELb1EiNS0_19identity_decomposerEEEEEvT0_T1_jPSH_T2_SH_.has_dyn_sized_stack, 0
	.set _ZN7rocprim17ROCPRIM_304000_NS6detail45device_block_merge_mergepath_partition_kernelINS1_37wrapped_merge_sort_block_merge_configINS0_14default_configEiN2at4cuda3cub6detail10OpaqueTypeILi1EEEEEPijNS1_19radix_merge_compareILb0ELb1EiNS0_19identity_decomposerEEEEEvT0_T1_jPSH_T2_SH_.has_recursion, 0
	.set _ZN7rocprim17ROCPRIM_304000_NS6detail45device_block_merge_mergepath_partition_kernelINS1_37wrapped_merge_sort_block_merge_configINS0_14default_configEiN2at4cuda3cub6detail10OpaqueTypeILi1EEEEEPijNS1_19radix_merge_compareILb0ELb1EiNS0_19identity_decomposerEEEEEvT0_T1_jPSH_T2_SH_.has_indirect_call, 0
	.section	.AMDGPU.csdata,"",@progbits
; Kernel info:
; codeLenInByte = 332
; TotalNumSgprs: 14
; NumVgprs: 17
; NumAgprs: 0
; TotalNumVgprs: 17
; ScratchSize: 0
; MemoryBound: 0
; FloatMode: 240
; IeeeMode: 1
; LDSByteSize: 0 bytes/workgroup (compile time only)
; SGPRBlocks: 1
; VGPRBlocks: 2
; NumSGPRsForWavesPerEU: 14
; NumVGPRsForWavesPerEU: 17
; AccumOffset: 20
; Occupancy: 8
; WaveLimiterHint : 0
; COMPUTE_PGM_RSRC2:SCRATCH_EN: 0
; COMPUTE_PGM_RSRC2:USER_SGPR: 2
; COMPUTE_PGM_RSRC2:TRAP_HANDLER: 0
; COMPUTE_PGM_RSRC2:TGID_X_EN: 1
; COMPUTE_PGM_RSRC2:TGID_Y_EN: 0
; COMPUTE_PGM_RSRC2:TGID_Z_EN: 0
; COMPUTE_PGM_RSRC2:TIDIG_COMP_CNT: 0
; COMPUTE_PGM_RSRC3_GFX90A:ACCUM_OFFSET: 4
; COMPUTE_PGM_RSRC3_GFX90A:TG_SPLIT: 0
	.section	.text._ZN7rocprim17ROCPRIM_304000_NS6detail35device_block_merge_mergepath_kernelINS1_37wrapped_merge_sort_block_merge_configINS0_14default_configEiN2at4cuda3cub6detail10OpaqueTypeILi1EEEEEPiSC_PSA_SD_jNS1_19radix_merge_compareILb0ELb1EiNS0_19identity_decomposerEEEEEvT0_T1_T2_T3_T4_SL_jT5_PKSL_NS1_7vsmem_tE,"axG",@progbits,_ZN7rocprim17ROCPRIM_304000_NS6detail35device_block_merge_mergepath_kernelINS1_37wrapped_merge_sort_block_merge_configINS0_14default_configEiN2at4cuda3cub6detail10OpaqueTypeILi1EEEEEPiSC_PSA_SD_jNS1_19radix_merge_compareILb0ELb1EiNS0_19identity_decomposerEEEEEvT0_T1_T2_T3_T4_SL_jT5_PKSL_NS1_7vsmem_tE,comdat
	.protected	_ZN7rocprim17ROCPRIM_304000_NS6detail35device_block_merge_mergepath_kernelINS1_37wrapped_merge_sort_block_merge_configINS0_14default_configEiN2at4cuda3cub6detail10OpaqueTypeILi1EEEEEPiSC_PSA_SD_jNS1_19radix_merge_compareILb0ELb1EiNS0_19identity_decomposerEEEEEvT0_T1_T2_T3_T4_SL_jT5_PKSL_NS1_7vsmem_tE ; -- Begin function _ZN7rocprim17ROCPRIM_304000_NS6detail35device_block_merge_mergepath_kernelINS1_37wrapped_merge_sort_block_merge_configINS0_14default_configEiN2at4cuda3cub6detail10OpaqueTypeILi1EEEEEPiSC_PSA_SD_jNS1_19radix_merge_compareILb0ELb1EiNS0_19identity_decomposerEEEEEvT0_T1_T2_T3_T4_SL_jT5_PKSL_NS1_7vsmem_tE
	.globl	_ZN7rocprim17ROCPRIM_304000_NS6detail35device_block_merge_mergepath_kernelINS1_37wrapped_merge_sort_block_merge_configINS0_14default_configEiN2at4cuda3cub6detail10OpaqueTypeILi1EEEEEPiSC_PSA_SD_jNS1_19radix_merge_compareILb0ELb1EiNS0_19identity_decomposerEEEEEvT0_T1_T2_T3_T4_SL_jT5_PKSL_NS1_7vsmem_tE
	.p2align	8
	.type	_ZN7rocprim17ROCPRIM_304000_NS6detail35device_block_merge_mergepath_kernelINS1_37wrapped_merge_sort_block_merge_configINS0_14default_configEiN2at4cuda3cub6detail10OpaqueTypeILi1EEEEEPiSC_PSA_SD_jNS1_19radix_merge_compareILb0ELb1EiNS0_19identity_decomposerEEEEEvT0_T1_T2_T3_T4_SL_jT5_PKSL_NS1_7vsmem_tE,@function
_ZN7rocprim17ROCPRIM_304000_NS6detail35device_block_merge_mergepath_kernelINS1_37wrapped_merge_sort_block_merge_configINS0_14default_configEiN2at4cuda3cub6detail10OpaqueTypeILi1EEEEEPiSC_PSA_SD_jNS1_19radix_merge_compareILb0ELb1EiNS0_19identity_decomposerEEEEEvT0_T1_T2_T3_T4_SL_jT5_PKSL_NS1_7vsmem_tE: ; @_ZN7rocprim17ROCPRIM_304000_NS6detail35device_block_merge_mergepath_kernelINS1_37wrapped_merge_sort_block_merge_configINS0_14default_configEiN2at4cuda3cub6detail10OpaqueTypeILi1EEEEEPiSC_PSA_SD_jNS1_19radix_merge_compareILb0ELb1EiNS0_19identity_decomposerEEEEEvT0_T1_T2_T3_T4_SL_jT5_PKSL_NS1_7vsmem_tE
; %bb.0:
	s_load_dwordx2 s[10:11], s[0:1], 0x40
	s_load_dwordx4 s[20:23], s[0:1], 0x20
	s_add_u32 s8, s0, 64
	s_addc_u32 s9, s1, 0
	s_waitcnt lgkmcnt(0)
	s_mul_i32 s4, s11, s4
	s_add_i32 s3, s4, s3
	s_mul_i32 s3, s3, s10
	s_add_i32 s6, s3, s2
	s_cmp_ge_u32 s6, s22
	s_cbranch_scc1 .LBB21_105
; %bb.1:
	s_load_dwordx8 s[12:19], s[0:1], 0x0
	s_load_dwordx2 s[4:5], s[0:1], 0x30
	s_lshr_b32 s11, s20, 10
	s_cmp_lg_u32 s6, s11
	s_mov_b32 s7, 0
	s_cselect_b64 s[24:25], -1, 0
	s_lshl_b64 s[0:1], s[6:7], 2
	s_waitcnt lgkmcnt(0)
	s_add_u32 s0, s4, s0
	s_addc_u32 s1, s5, s1
	s_load_dwordx2 s[26:27], s[0:1], 0x0
	s_lshr_b32 s0, s21, 9
	s_and_b32 s0, s0, 0x7ffffe
	s_sub_i32 s0, 0, s0
	s_and_b32 s1, s6, s0
	s_lshl_b32 s3, s1, 10
	s_lshl_b32 s22, s6, 10
	;; [unrolled: 1-line block ×3, first 2 shown]
	s_sub_i32 s4, s22, s3
	s_add_i32 s1, s1, s21
	s_add_i32 s4, s1, s4
	s_waitcnt lgkmcnt(0)
	s_sub_i32 s5, s4, s26
	s_sub_i32 s4, s4, s27
	;; [unrolled: 1-line block ×3, first 2 shown]
	s_min_u32 s28, s20, s5
	s_addk_i32 s4, 0x400
	s_or_b32 s0, s6, s0
	s_min_u32 s3, s20, s1
	s_add_i32 s1, s1, s21
	s_cmp_eq_u32 s0, -1
	s_cselect_b32 s0, s1, s4
	s_cselect_b32 s1, s3, s27
	s_min_u32 s0, s0, s20
	s_mov_b32 s27, s7
	s_sub_i32 s33, s1, s26
	s_sub_i32 s34, s0, s28
	s_lshl_b64 s[0:1], s[26:27], 2
	s_add_u32 s0, s12, s0
	s_mov_b32 s29, s7
	s_addc_u32 s1, s13, s1
	s_lshl_b64 s[4:5], s[28:29], 2
	s_add_u32 s4, s12, s4
	s_addc_u32 s5, s13, s5
	s_cmp_lt_u32 s2, s10
	v_mov_b32_e32 v11, 0
	s_cselect_b32 s2, 12, 18
	global_load_dword v1, v11, s[8:9] offset:14
	s_add_u32 s2, s8, s2
	s_addc_u32 s3, s9, 0
	global_load_ushort v2, v11, s[2:3]
	v_cmp_gt_u32_e32 vcc, s33, v0
	s_cmp_eq_u32 s6, s11
	v_lshlrev_b32_e32 v10, 2, v0
	s_waitcnt vmcnt(1)
	v_lshrrev_b32_e32 v3, 16, v1
	v_and_b32_e32 v1, 0xffff, v1
	v_mul_lo_u32 v1, v1, v3
	s_waitcnt vmcnt(0)
	v_mul_lo_u32 v1, v1, v2
	v_add_u32_e32 v12, v1, v0
	s_cbranch_scc1 .LBB21_3
; %bb.2:
	v_subrev_u32_e32 v4, s33, v0
	v_lshlrev_b32_e32 v4, 2, v4
	v_mov_b32_e32 v5, v11
	v_lshl_add_u64 v[2:3], s[0:1], 0, v[10:11]
	v_lshl_add_u64 v[4:5], s[4:5], 0, v[4:5]
	v_cndmask_b32_e32 v3, v5, v3, vcc
	v_cndmask_b32_e32 v2, v4, v2, vcc
	v_mov_b32_e32 v13, v11
	v_subrev_co_u32_e32 v6, vcc, s33, v12
	v_mov_b32_e32 v7, v11
	v_lshl_add_u64 v[4:5], v[12:13], 2, s[0:1]
	v_lshl_add_u64 v[6:7], v[6:7], 2, s[4:5]
	v_cndmask_b32_e32 v4, v6, v4, vcc
	v_add_u32_e32 v6, v12, v1
	v_cndmask_b32_e32 v5, v7, v5, vcc
	v_mov_b32_e32 v7, v11
	v_subrev_co_u32_e32 v8, vcc, s33, v6
	v_mov_b32_e32 v9, v11
	global_load_dword v2, v[2:3], off
	v_lshl_add_u64 v[8:9], v[8:9], 2, s[4:5]
	global_load_dword v3, v[4:5], off
	v_lshl_add_u64 v[4:5], v[6:7], 2, s[0:1]
	v_add_u32_e32 v6, v6, v1
	v_cndmask_b32_e32 v5, v9, v5, vcc
	v_cndmask_b32_e32 v4, v8, v4, vcc
	v_subrev_co_u32_e32 v14, vcc, s33, v6
	v_mov_b32_e32 v15, v11
	v_lshl_add_u64 v[8:9], v[6:7], 2, s[0:1]
	v_lshl_add_u64 v[14:15], v[14:15], 2, s[4:5]
	v_cndmask_b32_e32 v9, v15, v9, vcc
	v_cndmask_b32_e32 v8, v14, v8, vcc
	global_load_dword v4, v[4:5], off
	v_mov_b32_e32 v15, v11
	global_load_dword v5, v[8:9], off
	v_add_u32_e32 v8, v6, v1
	v_mov_b32_e32 v9, v11
	v_subrev_co_u32_e32 v14, vcc, s33, v8
	v_lshl_add_u64 v[6:7], v[8:9], 2, s[0:1]
	v_lshl_add_u64 v[14:15], v[14:15], 2, s[4:5]
	v_add_u32_e32 v8, v8, v1
	v_cndmask_b32_e32 v7, v15, v7, vcc
	v_cndmask_b32_e32 v6, v14, v6, vcc
	v_subrev_co_u32_e32 v16, vcc, s33, v8
	v_mov_b32_e32 v17, v11
	v_lshl_add_u64 v[14:15], v[8:9], 2, s[0:1]
	v_lshl_add_u64 v[16:17], v[16:17], 2, s[4:5]
	v_cndmask_b32_e32 v15, v17, v15, vcc
	v_cndmask_b32_e32 v14, v16, v14, vcc
	global_load_dword v6, v[6:7], off
	v_mov_b32_e32 v17, v11
	global_load_dword v7, v[14:15], off
	v_add_u32_e32 v14, v8, v1
	v_mov_b32_e32 v15, v11
	v_subrev_co_u32_e32 v16, vcc, s33, v14
	v_lshl_add_u64 v[8:9], v[14:15], 2, s[0:1]
	v_lshl_add_u64 v[16:17], v[16:17], 2, s[4:5]
	v_add_u32_e32 v14, v14, v1
	v_cndmask_b32_e32 v9, v17, v9, vcc
	v_cndmask_b32_e32 v8, v16, v8, vcc
	v_lshl_add_u64 v[16:17], v[14:15], 2, s[0:1]
	v_subrev_co_u32_e32 v14, vcc, s33, v14
	v_lshl_add_u64 v[14:15], v[14:15], 2, s[4:5]
	s_nop 0
	v_cndmask_b32_e32 v15, v15, v17, vcc
	v_cndmask_b32_e32 v14, v14, v16, vcc
	global_load_dword v8, v[8:9], off
	s_add_i32 s21, s34, s33
	global_load_dword v9, v[14:15], off
	s_cbranch_execz .LBB21_4
	s_branch .LBB21_21
.LBB21_3:
                                        ; implicit-def: $vgpr2_vgpr3_vgpr4_vgpr5_vgpr6_vgpr7_vgpr8_vgpr9
                                        ; implicit-def: $sgpr21
.LBB21_4:
	s_add_i32 s21, s34, s33
	s_waitcnt vmcnt(7)
	v_mov_b32_e32 v2, 0
	v_cmp_gt_u32_e32 vcc, s21, v0
	s_waitcnt vmcnt(6)
	v_mov_b32_e32 v3, v2
	s_waitcnt vmcnt(5)
	v_mov_b32_e32 v4, v2
	;; [unrolled: 2-line block ×7, first 2 shown]
	s_and_saveexec_b64 s[2:3], vcc
	s_cbranch_execz .LBB21_6
; %bb.5:
	v_subrev_u32_e32 v3, s33, v0
	v_mov_b32_e32 v11, v2
	v_lshlrev_b32_e32 v6, 2, v3
	v_mov_b32_e32 v7, v2
	v_lshl_add_u64 v[4:5], s[0:1], 0, v[10:11]
	v_lshl_add_u64 v[6:7], s[4:5], 0, v[6:7]
	v_cmp_gt_u32_e32 vcc, s33, v0
	v_mov_b32_e32 v15, v2
	v_mov_b32_e32 v16, v2
	v_cndmask_b32_e32 v5, v7, v5, vcc
	v_cndmask_b32_e32 v4, v6, v4, vcc
	global_load_dword v14, v[4:5], off
	v_mov_b32_e32 v17, v2
	v_mov_b32_e32 v18, v2
	;; [unrolled: 1-line block ×5, first 2 shown]
	s_waitcnt vmcnt(0)
	v_mov_b64_e32 v[2:3], v[14:15]
	v_mov_b64_e32 v[4:5], v[16:17]
	;; [unrolled: 1-line block ×4, first 2 shown]
.LBB21_6:
	s_or_b64 exec, exec, s[2:3]
	v_cmp_gt_u32_e32 vcc, s21, v12
	s_and_saveexec_b64 s[2:3], vcc
	s_cbranch_execz .LBB21_8
; %bb.7:
	v_mov_b32_e32 v13, 0
	v_subrev_co_u32_e32 v16, vcc, s33, v12
	v_mov_b32_e32 v17, v13
	v_lshl_add_u64 v[14:15], v[12:13], 2, s[0:1]
	v_lshl_add_u64 v[16:17], v[16:17], 2, s[4:5]
	v_cndmask_b32_e32 v15, v17, v15, vcc
	v_cndmask_b32_e32 v14, v16, v14, vcc
	global_load_dword v3, v[14:15], off
.LBB21_8:
	s_or_b64 exec, exec, s[2:3]
	v_add_u32_e32 v12, v12, v1
	v_cmp_gt_u32_e32 vcc, s21, v12
	s_and_saveexec_b64 s[2:3], vcc
	s_cbranch_execz .LBB21_10
; %bb.9:
	v_mov_b32_e32 v13, 0
	v_subrev_co_u32_e32 v16, vcc, s33, v12
	v_mov_b32_e32 v17, v13
	v_lshl_add_u64 v[14:15], v[12:13], 2, s[0:1]
	v_lshl_add_u64 v[16:17], v[16:17], 2, s[4:5]
	v_cndmask_b32_e32 v15, v17, v15, vcc
	v_cndmask_b32_e32 v14, v16, v14, vcc
	global_load_dword v4, v[14:15], off
.LBB21_10:
	s_or_b64 exec, exec, s[2:3]
	v_add_u32_e32 v12, v12, v1
	v_cmp_gt_u32_e32 vcc, s21, v12
	s_and_saveexec_b64 s[2:3], vcc
	s_cbranch_execz .LBB21_12
; %bb.11:
	v_mov_b32_e32 v13, 0
	v_subrev_co_u32_e32 v16, vcc, s33, v12
	v_mov_b32_e32 v17, v13
	v_lshl_add_u64 v[14:15], v[12:13], 2, s[0:1]
	v_lshl_add_u64 v[16:17], v[16:17], 2, s[4:5]
	v_cndmask_b32_e32 v15, v17, v15, vcc
	v_cndmask_b32_e32 v14, v16, v14, vcc
	global_load_dword v5, v[14:15], off
.LBB21_12:
	s_or_b64 exec, exec, s[2:3]
	v_add_u32_e32 v12, v12, v1
	v_cmp_gt_u32_e32 vcc, s21, v12
	s_and_saveexec_b64 s[2:3], vcc
	s_cbranch_execz .LBB21_14
; %bb.13:
	v_mov_b32_e32 v13, 0
	v_subrev_co_u32_e32 v16, vcc, s33, v12
	v_mov_b32_e32 v17, v13
	v_lshl_add_u64 v[14:15], v[12:13], 2, s[0:1]
	v_lshl_add_u64 v[16:17], v[16:17], 2, s[4:5]
	v_cndmask_b32_e32 v15, v17, v15, vcc
	v_cndmask_b32_e32 v14, v16, v14, vcc
	global_load_dword v6, v[14:15], off
.LBB21_14:
	s_or_b64 exec, exec, s[2:3]
	v_add_u32_e32 v12, v12, v1
	v_cmp_gt_u32_e32 vcc, s21, v12
	s_and_saveexec_b64 s[2:3], vcc
	s_cbranch_execz .LBB21_16
; %bb.15:
	v_mov_b32_e32 v13, 0
	v_subrev_co_u32_e32 v16, vcc, s33, v12
	v_mov_b32_e32 v17, v13
	v_lshl_add_u64 v[14:15], v[12:13], 2, s[0:1]
	v_lshl_add_u64 v[16:17], v[16:17], 2, s[4:5]
	v_cndmask_b32_e32 v15, v17, v15, vcc
	v_cndmask_b32_e32 v14, v16, v14, vcc
	global_load_dword v7, v[14:15], off
.LBB21_16:
	s_or_b64 exec, exec, s[2:3]
	v_add_u32_e32 v12, v12, v1
	v_cmp_gt_u32_e32 vcc, s21, v12
	s_and_saveexec_b64 s[2:3], vcc
	s_cbranch_execz .LBB21_18
; %bb.17:
	v_mov_b32_e32 v13, 0
	v_subrev_co_u32_e32 v16, vcc, s33, v12
	v_mov_b32_e32 v17, v13
	v_lshl_add_u64 v[14:15], v[12:13], 2, s[0:1]
	v_lshl_add_u64 v[16:17], v[16:17], 2, s[4:5]
	v_cndmask_b32_e32 v15, v17, v15, vcc
	v_cndmask_b32_e32 v14, v16, v14, vcc
	global_load_dword v8, v[14:15], off
.LBB21_18:
	s_or_b64 exec, exec, s[2:3]
	v_add_u32_e32 v12, v12, v1
	v_cmp_gt_u32_e32 vcc, s21, v12
	s_and_saveexec_b64 s[2:3], vcc
	s_cbranch_execz .LBB21_20
; %bb.19:
	v_mov_b32_e32 v13, 0
	v_lshl_add_u64 v[14:15], v[12:13], 2, s[0:1]
	v_subrev_co_u32_e32 v12, vcc, s33, v12
	v_lshl_add_u64 v[12:13], v[12:13], 2, s[4:5]
	s_nop 0
	v_cndmask_b32_e32 v13, v13, v15, vcc
	v_cndmask_b32_e32 v12, v12, v14, vcc
	global_load_dword v9, v[12:13], off
.LBB21_20:
	s_or_b64 exec, exec, s[2:3]
.LBB21_21:
	v_lshlrev_b32_e32 v11, 3, v0
	v_min_u32_e32 v1, s21, v11
	v_sub_u32_e64 v12, v1, s34 clamp
	v_min_u32_e32 v13, s33, v1
	v_cmp_lt_u32_e32 vcc, v12, v13
	s_waitcnt vmcnt(0)
	ds_write2st64_b32 v10, v2, v3 offset1:2
	ds_write2st64_b32 v10, v4, v5 offset0:4 offset1:6
	ds_write2st64_b32 v10, v6, v7 offset0:8 offset1:10
	;; [unrolled: 1-line block ×3, first 2 shown]
	s_waitcnt lgkmcnt(0)
	s_barrier
	s_and_saveexec_b64 s[0:1], vcc
	s_cbranch_execz .LBB21_25
; %bb.22:
	v_lshlrev_b32_e32 v14, 2, v1
	v_lshl_add_u32 v14, s33, 2, v14
	s_mov_b64 s[2:3], 0
.LBB21_23:                              ; =>This Inner Loop Header: Depth=1
	v_add_u32_e32 v15, v13, v12
	v_lshrrev_b32_e32 v15, 1, v15
	v_not_b32_e32 v16, v15
	v_lshlrev_b32_e32 v17, 2, v15
	v_lshl_add_u32 v16, v16, 2, v14
	ds_read_b32 v17, v17
	ds_read_b32 v16, v16
	v_add_u32_e32 v18, 1, v15
	s_waitcnt lgkmcnt(1)
	v_and_b32_e32 v17, s23, v17
	s_waitcnt lgkmcnt(0)
	v_and_b32_e32 v16, s23, v16
	v_cmp_gt_i32_e32 vcc, v17, v16
	s_nop 1
	v_cndmask_b32_e32 v13, v13, v15, vcc
	v_cndmask_b32_e32 v12, v18, v12, vcc
	v_cmp_ge_u32_e32 vcc, v12, v13
	s_or_b64 s[2:3], vcc, s[2:3]
	s_andn2_b64 exec, exec, s[2:3]
	s_cbranch_execnz .LBB21_23
; %bb.24:
	s_or_b64 exec, exec, s[2:3]
.LBB21_25:
	s_or_b64 exec, exec, s[0:1]
	v_sub_u32_e32 v1, v1, v12
	v_add_u32_e32 v13, s33, v1
	v_cmp_ge_u32_e32 vcc, s33, v12
	v_cmp_ge_u32_e64 s[0:1], s21, v13
	s_or_b64 s[0:1], vcc, s[0:1]
	v_mov_b32_e32 v20, 0
	v_mov_b32_e32 v23, 0
	v_mov_b32_e32 v22, 0
	v_mov_b32_e32 v21, 0
	v_mov_b32_e32 v19, 0
	v_mov_b32_e32 v18, 0
	v_mov_b32_e32 v17, 0
	v_mov_b32_e32 v16, 0
	s_and_saveexec_b64 s[30:31], s[0:1]
	s_cbranch_execz .LBB21_31
; %bb.26:
	v_cmp_gt_u32_e32 vcc, s33, v12
                                        ; implicit-def: $vgpr1
	s_and_saveexec_b64 s[0:1], vcc
; %bb.27:
	v_lshlrev_b32_e32 v1, 2, v12
	ds_read_b32 v1, v1
; %bb.28:
	s_or_b64 exec, exec, s[0:1]
	v_cmp_le_u32_e64 s[0:1], s21, v13
	v_cmp_gt_u32_e64 s[2:3], s21, v13
                                        ; implicit-def: $vgpr2
	s_and_saveexec_b64 s[4:5], s[2:3]
; %bb.29:
	v_lshlrev_b32_e32 v2, 2, v13
	ds_read_b32 v2, v2
; %bb.30:
	s_or_b64 exec, exec, s[4:5]
	s_waitcnt lgkmcnt(0)
	v_and_b32_e32 v3, s23, v2
	v_and_b32_e32 v4, s23, v1
	v_cmp_le_i32_e64 s[2:3], v4, v3
	s_and_b64 s[2:3], vcc, s[2:3]
	s_or_b64 vcc, s[0:1], s[2:3]
	v_mov_b32_e32 v5, s21
	v_mov_b32_e32 v6, s33
	v_cndmask_b32_e32 v16, v13, v12, vcc
	v_cndmask_b32_e32 v3, v5, v6, vcc
	v_add_u32_e32 v4, 1, v16
	v_add_u32_e32 v3, -1, v3
	v_min_u32_e32 v3, v4, v3
	v_lshlrev_b32_e32 v3, 2, v3
	ds_read_b32 v3, v3
	v_cndmask_b32_e32 v8, v4, v13, vcc
	v_cndmask_b32_e32 v4, v12, v4, vcc
	v_cmp_gt_u32_e64 s[2:3], s33, v4
	v_cmp_le_u32_e64 s[0:1], s21, v8
	s_waitcnt lgkmcnt(0)
	v_cndmask_b32_e32 v7, v3, v2, vcc
	v_cndmask_b32_e32 v3, v1, v3, vcc
	v_and_b32_e32 v9, s23, v7
	v_and_b32_e32 v12, s23, v3
	v_cmp_le_i32_e64 s[4:5], v12, v9
	s_and_b64 s[2:3], s[2:3], s[4:5]
	s_or_b64 s[0:1], s[0:1], s[2:3]
	v_cndmask_b32_e64 v17, v8, v4, s[0:1]
	v_cndmask_b32_e64 v9, v5, v6, s[0:1]
	v_add_u32_e32 v12, 1, v17
	v_add_u32_e32 v9, -1, v9
	v_min_u32_e32 v9, v12, v9
	v_lshlrev_b32_e32 v9, 2, v9
	ds_read_b32 v9, v9
	v_cndmask_b32_e64 v8, v12, v8, s[0:1]
	v_cndmask_b32_e64 v4, v4, v12, s[0:1]
	v_cmp_gt_u32_e64 s[4:5], s33, v4
	v_cmp_le_u32_e64 s[2:3], s21, v8
	s_waitcnt lgkmcnt(0)
	v_cndmask_b32_e64 v13, v9, v7, s[0:1]
	v_cndmask_b32_e64 v9, v3, v9, s[0:1]
	v_and_b32_e32 v12, s23, v13
	v_and_b32_e32 v14, s23, v9
	v_cmp_le_i32_e64 s[6:7], v14, v12
	s_and_b64 s[4:5], s[4:5], s[6:7]
	s_or_b64 s[2:3], s[2:3], s[4:5]
	v_cndmask_b32_e64 v18, v8, v4, s[2:3]
	v_cndmask_b32_e64 v12, v5, v6, s[2:3]
	v_add_u32_e32 v14, 1, v18
	v_add_u32_e32 v12, -1, v12
	v_min_u32_e32 v12, v14, v12
	v_lshlrev_b32_e32 v12, 2, v12
	ds_read_b32 v12, v12
	v_cndmask_b32_e64 v8, v14, v8, s[2:3]
	v_cndmask_b32_e64 v4, v4, v14, s[2:3]
	v_cmp_gt_u32_e64 s[6:7], s33, v4
	v_cmp_le_u32_e64 s[4:5], s21, v8
	s_waitcnt lgkmcnt(0)
	v_cndmask_b32_e64 v15, v12, v13, s[2:3]
	v_cndmask_b32_e64 v12, v9, v12, s[2:3]
	;; [unrolled: 19-line block ×4, first 2 shown]
	v_and_b32_e32 v4, s23, v25
	v_and_b32_e32 v22, s23, v20
	v_cmp_le_i32_e64 s[12:13], v22, v4
	s_and_b64 s[10:11], s[10:11], s[12:13]
	s_or_b64 s[8:9], s[8:9], s[10:11]
	v_cndmask_b32_e64 v22, v8, v23, s[8:9]
	v_cndmask_b32_e64 v4, v5, v6, s[8:9]
	v_add_u32_e32 v26, 1, v22
	v_add_u32_e32 v4, -1, v4
	v_min_u32_e32 v4, v26, v4
	v_lshlrev_b32_e32 v4, 2, v4
	ds_read_b32 v27, v4
	v_cndmask_b32_e32 v2, v2, v1, vcc
	v_cndmask_b32_e64 v4, v13, v9, s[2:3]
	v_cndmask_b32_e64 v3, v7, v3, s[0:1]
	;; [unrolled: 1-line block ×3, first 2 shown]
	s_waitcnt lgkmcnt(0)
	v_cndmask_b32_e64 v1, v27, v25, s[8:9]
	v_cndmask_b32_e64 v9, v20, v27, s[8:9]
	;; [unrolled: 1-line block ×3, first 2 shown]
	v_and_b32_e32 v7, s23, v1
	v_and_b32_e32 v8, s23, v9
	v_cmp_gt_u32_e64 s[0:1], s33, v26
	v_cmp_le_i32_e64 s[2:3], v8, v7
	v_cmp_le_u32_e32 vcc, s21, v13
	s_and_b64 s[0:1], s[0:1], s[2:3]
	s_or_b64 vcc, vcc, s[0:1]
	v_cndmask_b32_e32 v23, v13, v26, vcc
	v_cndmask_b32_e32 v5, v5, v6, vcc
	v_add_u32_e32 v27, 1, v23
	v_add_u32_e32 v5, -1, v5
	v_min_u32_e32 v5, v27, v5
	v_lshlrev_b32_e32 v5, 2, v5
	ds_read_b32 v28, v5
	v_cndmask_b32_e32 v8, v1, v9, vcc
	v_cndmask_b32_e64 v5, v15, v12, s[4:5]
	v_cndmask_b32_e64 v6, v24, v14, s[6:7]
	v_cndmask_b32_e32 v12, v27, v13, vcc
	s_waitcnt lgkmcnt(0)
	v_cndmask_b32_e32 v1, v28, v1, vcc
	v_cndmask_b32_e32 v9, v9, v28, vcc
	;; [unrolled: 1-line block ×3, first 2 shown]
	v_and_b32_e32 v14, s23, v1
	v_and_b32_e32 v15, s23, v9
	v_cmp_gt_u32_e64 s[0:1], s33, v13
	v_cmp_le_i32_e64 s[2:3], v15, v14
	v_cmp_le_u32_e32 vcc, s21, v12
	s_and_b64 s[0:1], s[0:1], s[2:3]
	s_or_b64 vcc, vcc, s[0:1]
	v_cndmask_b32_e64 v7, v25, v20, s[8:9]
	v_cndmask_b32_e32 v20, v12, v13, vcc
	v_cndmask_b32_e32 v9, v1, v9, vcc
.LBB21_31:
	s_or_b64 exec, exec, s[30:31]
	s_add_u32 s8, s16, s26
	s_addc_u32 s9, s17, 0
	s_add_u32 s6, s16, s28
	v_cndmask_b32_e64 v12, 0, 1, s[24:25]
	v_mov_b32_e32 v1, 0
	s_addc_u32 s7, s17, 0
	v_cmp_gt_u32_e64 s[4:5], s33, v0
	v_cmp_ne_u32_e64 s[0:1], 1, v12
	s_andn2_b64 vcc, exec, s[24:25]
	v_cmp_le_u32_e64 s[2:3], s33, v0
	s_barrier
	s_cbranch_vccnz .LBB21_33
; %bb.32:
	v_subrev_u32_e32 v14, s33, v0
	v_mov_b32_e32 v15, v1
	v_lshl_add_u64 v[12:13], s[8:9], 0, v[0:1]
	v_lshl_add_u64 v[14:15], s[6:7], 0, v[14:15]
	v_cndmask_b32_e64 v13, v15, v13, s[4:5]
	v_cndmask_b32_e64 v12, v14, v12, s[4:5]
	global_load_ubyte v25, v[12:13], off
	v_or_b32_e32 v13, 0x80, v0
	v_subrev_u32_e32 v12, s33, v13
	v_mov_b32_e32 v26, s7
	v_mov_b32_e32 v27, s9
	v_cmp_gt_u32_e32 vcc, s33, v13
	v_mov_b32_e32 v28, s6
	v_mov_b32_e32 v29, s8
	v_min_u32_e32 v12, v13, v12
	v_cndmask_b32_e32 v15, v26, v27, vcc
	v_cndmask_b32_e32 v14, v28, v29, vcc
	v_mov_b32_e32 v13, v1
	v_lshl_add_u64 v[12:13], v[14:15], 0, v[12:13]
	global_load_ubyte v30, v[12:13], off
	v_or_b32_e32 v13, 0x100, v0
	v_subrev_u32_e32 v12, s33, v13
	v_cmp_gt_u32_e32 vcc, s33, v13
	v_min_u32_e32 v12, v13, v12
	v_mov_b32_e32 v13, v1
	v_cndmask_b32_e32 v15, v26, v27, vcc
	v_cndmask_b32_e32 v14, v28, v29, vcc
	v_lshl_add_u64 v[12:13], v[14:15], 0, v[12:13]
	global_load_ubyte v31, v[12:13], off
	v_or_b32_e32 v13, 0x180, v0
	v_subrev_u32_e32 v12, s33, v13
	v_cmp_gt_u32_e32 vcc, s33, v13
	v_min_u32_e32 v12, v13, v12
	v_mov_b32_e32 v13, v1
	v_cndmask_b32_e32 v15, v26, v27, vcc
	v_cndmask_b32_e32 v14, v28, v29, vcc
	;; [unrolled: 9-line block ×5, first 2 shown]
	v_lshl_add_u64 v[12:13], v[14:15], 0, v[12:13]
	global_load_ubyte v15, v[12:13], off
	v_or_b32_e32 v24, 0x380, v0
	v_subrev_u32_e32 v12, s33, v24
	v_cmp_gt_u32_e32 vcc, s33, v24
	v_min_u32_e32 v14, v24, v12
	s_nop 0
	v_cndmask_b32_e32 v13, v26, v27, vcc
	v_cndmask_b32_e32 v12, v28, v29, vcc
	s_mov_b64 s[4:5], -1
	s_waitcnt vmcnt(6)
	ds_write_b8 v0, v25
	s_waitcnt vmcnt(5)
	ds_write_b8 v0, v30 offset:128
	s_waitcnt vmcnt(4)
	ds_write_b8 v0, v31 offset:256
	;; [unrolled: 2-line block ×6, first 2 shown]
	s_cbranch_execz .LBB21_34
	s_branch .LBB21_67
.LBB21_33:
	s_mov_b64 s[4:5], 0
                                        ; implicit-def: $vgpr24
                                        ; implicit-def: $vgpr12_vgpr13
                                        ; implicit-def: $vgpr14
.LBB21_34:
	s_and_saveexec_b64 s[4:5], s[2:3]
	s_xor_b64 s[2:3], exec, s[4:5]
	s_cbranch_execz .LBB21_38
; %bb.35:
	v_subrev_u32_e32 v12, s33, v0
	v_cmp_gt_u32_e32 vcc, s34, v12
	s_and_saveexec_b64 s[4:5], vcc
	s_cbranch_execz .LBB21_37
; %bb.36:
	global_load_ubyte v12, v12, s[6:7]
	s_waitcnt vmcnt(0)
	ds_write_b8 v0, v12
.LBB21_37:
	s_or_b64 exec, exec, s[4:5]
.LBB21_38:
	s_andn2_saveexec_b64 s[2:3], s[2:3]
	s_cbranch_execz .LBB21_40
; %bb.39:
	v_lshl_add_u64 v[12:13], s[8:9], 0, v[0:1]
	global_load_ubyte v1, v[12:13], off
	s_waitcnt vmcnt(0)
	ds_write_b8 v0, v1
.LBB21_40:
	s_or_b64 exec, exec, s[2:3]
	v_or_b32_e32 v12, 0x80, v0
	v_cmp_le_u32_e32 vcc, s33, v12
	s_mov_b64 s[2:3], -1
	v_mov_b64_e32 v[14:15], s[26:27]
	s_and_saveexec_b64 s[4:5], vcc
; %bb.41:
	v_subrev_u32_e32 v12, s33, v12
	v_cmp_gt_u32_e32 vcc, s34, v12
	v_mov_b64_e32 v[14:15], s[28:29]
	s_orn2_b64 s[2:3], vcc, exec
; %bb.42:
	s_or_b64 exec, exec, s[4:5]
	s_and_saveexec_b64 s[4:5], s[2:3]
	s_cbranch_execz .LBB21_44
; %bb.43:
	v_lshl_add_u64 v[14:15], s[16:17], 0, v[14:15]
	v_mov_b32_e32 v13, 0
	v_lshl_add_u64 v[12:13], v[14:15], 0, v[12:13]
	global_load_ubyte v1, v[12:13], off
	s_waitcnt vmcnt(0)
	ds_write_b8 v0, v1 offset:128
.LBB21_44:
	s_or_b64 exec, exec, s[4:5]
	v_or_b32_e32 v12, 0x100, v0
	v_cmp_le_u32_e32 vcc, s33, v12
	s_mov_b64 s[2:3], -1
	v_mov_b64_e32 v[14:15], s[26:27]
	s_and_saveexec_b64 s[4:5], vcc
; %bb.45:
	v_subrev_u32_e32 v12, s33, v12
	v_cmp_gt_u32_e32 vcc, s34, v12
	v_mov_b64_e32 v[14:15], s[28:29]
	s_orn2_b64 s[2:3], vcc, exec
; %bb.46:
	s_or_b64 exec, exec, s[4:5]
	s_and_saveexec_b64 s[4:5], s[2:3]
	s_cbranch_execz .LBB21_48
; %bb.47:
	v_lshl_add_u64 v[14:15], s[16:17], 0, v[14:15]
	v_mov_b32_e32 v13, 0
	v_lshl_add_u64 v[12:13], v[14:15], 0, v[12:13]
	global_load_ubyte v1, v[12:13], off
	s_waitcnt vmcnt(0)
	ds_write_b8 v0, v1 offset:256
.LBB21_48:
	;; [unrolled: 23-line block ×6, first 2 shown]
	s_or_b64 exec, exec, s[4:5]
	v_or_b32_e32 v24, 0x380, v0
	v_cmp_le_u32_e32 vcc, s33, v24
	s_mov_b64 s[4:5], -1
	v_mov_b64_e32 v[12:13], s[8:9]
	v_mov_b32_e32 v14, v24
	s_and_saveexec_b64 s[2:3], vcc
; %bb.65:
	v_subrev_u32_e32 v14, s33, v24
	v_cmp_gt_u32_e32 vcc, s34, v14
	v_mov_b64_e32 v[12:13], s[6:7]
	s_orn2_b64 s[4:5], vcc, exec
; %bb.66:
	s_or_b64 exec, exec, s[2:3]
.LBB21_67:
	s_and_saveexec_b64 s[2:3], s[4:5]
	s_cbranch_execz .LBB21_69
; %bb.68:
	v_mov_b32_e32 v15, 0
	v_lshl_add_u64 v[12:13], v[12:13], 0, v[14:15]
	global_load_ubyte v1, v[12:13], off
	s_waitcnt vmcnt(0)
	ds_write_b8 v24, v1
.LBB21_69:
	s_or_b64 exec, exec, s[2:3]
	s_and_b64 vcc, exec, s[0:1]
	v_add_u32_e32 v12, s22, v11
	s_waitcnt lgkmcnt(0)
	s_barrier
	s_cbranch_vccnz .LBB21_71
; %bb.70:
	ds_read_u8 v1, v23
	ds_read_u8 v14, v17
	;; [unrolled: 1-line block ×7, first 2 shown]
	s_mov_b32 s0, 0xc0c0004
	s_waitcnt lgkmcnt(4)
	v_perm_b32 v14, v15, v14, s0
	s_waitcnt lgkmcnt(2)
	v_perm_b32 v15, v25, v24, s0
	v_mov_b32_e32 v13, 0
	v_lshl_or_b32 v14, v15, 16, v14
	s_waitcnt lgkmcnt(0)
	v_perm_b32 v15, v27, v26, s0
	s_mov_b64 s[0:1], -1
	global_store_byte v12, v1, s[18:19] offset:6
	global_store_short v12, v15, s[18:19] offset:4
	global_store_dword v12, v14, s[18:19]
	s_cbranch_execz .LBB21_72
	s_branch .LBB21_89
.LBB21_71:
	s_mov_b64 s[0:1], 0
.LBB21_72:
	v_cmp_gt_u32_e32 vcc, s21, v11
	s_and_saveexec_b64 s[2:3], vcc
	s_cbranch_execz .LBB21_74
; %bb.73:
	ds_read_u8 v1, v16
	s_waitcnt lgkmcnt(0)
	global_store_byte v12, v1, s[18:19]
.LBB21_74:
	s_or_b64 exec, exec, s[2:3]
	v_or_b32_e32 v1, 1, v11
	v_cmp_gt_u32_e32 vcc, s21, v1
	s_and_saveexec_b64 s[2:3], vcc
	s_cbranch_execz .LBB21_76
; %bb.75:
	ds_read_u8 v1, v17
	s_waitcnt lgkmcnt(0)
	global_store_byte v12, v1, s[18:19] offset:1
.LBB21_76:
	s_or_b64 exec, exec, s[2:3]
	v_or_b32_e32 v1, 2, v11
	v_cmp_gt_u32_e32 vcc, s21, v1
	s_and_saveexec_b64 s[2:3], vcc
	s_cbranch_execz .LBB21_78
; %bb.77:
	ds_read_u8 v1, v18
	s_waitcnt lgkmcnt(0)
	global_store_byte v12, v1, s[18:19] offset:2
.LBB21_78:
	;; [unrolled: 10-line block ×6, first 2 shown]
	s_or_b64 exec, exec, s[2:3]
	v_or_b32_e32 v1, 7, v11
	v_cmp_gt_u32_e32 vcc, s21, v1
	s_and_saveexec_b64 s[2:3], vcc
; %bb.87:
	v_mov_b32_e32 v13, 0
	s_or_b64 s[0:1], s[0:1], exec
; %bb.88:
	s_or_b64 exec, exec, s[2:3]
.LBB21_89:
	s_and_saveexec_b64 s[2:3], s[0:1]
	s_cbranch_execz .LBB21_91
; %bb.90:
	ds_read_u8 v1, v20
	v_lshl_add_u64 v[12:13], s[18:19], 0, v[12:13]
	s_waitcnt lgkmcnt(0)
	global_store_byte v[12:13], v1, off offset:7
.LBB21_91:
	s_or_b64 exec, exec, s[2:3]
	v_and_b32_e32 v1, 0x7c, v0
	v_lshl_add_u32 v1, v11, 2, v1
	s_barrier
	s_barrier
	ds_write2_b32 v1, v2, v3 offset1:1
	ds_write2_b32 v1, v4, v5 offset0:2 offset1:3
	ds_write2_b32 v1, v6, v7 offset0:4 offset1:5
	;; [unrolled: 1-line block ×3, first 2 shown]
	v_lshrrev_b32_e32 v1, 3, v0
	v_and_b32_e32 v1, 12, v1
	v_or_b32_e32 v9, 0x80, v0
	v_add_u32_e32 v11, v1, v10
	v_lshrrev_b32_e32 v1, 3, v9
	v_and_b32_e32 v1, 28, v1
	v_or_b32_e32 v8, 0x100, v0
	v_add_u32_e32 v12, v1, v10
	;; [unrolled: 4-line block ×6, first 2 shown]
	v_lshrrev_b32_e32 v1, 3, v4
	v_and_b32_e32 v1, 0x6c, v1
	s_mov_b32 s23, 0
	v_add_u32_e32 v17, v1, v10
	v_or_b32_e32 v1, 0x380, v0
	s_lshl_b64 s[0:1], s[22:23], 2
	v_lshrrev_b32_e32 v2, 3, v1
	s_add_u32 s0, s14, s0
	v_and_b32_e32 v2, 0x7c, v2
	s_addc_u32 s1, s15, s1
	v_add_u32_e32 v18, v2, v10
	v_lshlrev_b32_e32 v2, 2, v0
	v_mov_b32_e32 v3, 0
	v_lshl_add_u64 v[2:3], s[0:1], 0, v[2:3]
	s_and_b64 vcc, exec, s[24:25]
	s_waitcnt lgkmcnt(0)
	s_cbranch_vccz .LBB21_93
; %bb.92:
	s_barrier
	ds_read_b32 v10, v11
	ds_read_b32 v19, v12 offset:512
	ds_read_b32 v20, v13 offset:1024
	;; [unrolled: 1-line block ×7, first 2 shown]
	s_waitcnt lgkmcnt(7)
	global_store_dword v[2:3], v10, off
	s_waitcnt lgkmcnt(6)
	global_store_dword v[2:3], v19, off offset:512
	s_waitcnt lgkmcnt(5)
	global_store_dword v[2:3], v20, off offset:1024
	;; [unrolled: 2-line block ×6, first 2 shown]
	s_mov_b64 s[0:1], -1
	s_cbranch_execz .LBB21_94
	s_branch .LBB21_103
.LBB21_93:
	s_mov_b64 s[0:1], 0
                                        ; implicit-def: $vgpr21
.LBB21_94:
	s_barrier
	s_waitcnt lgkmcnt(0)
	ds_read_b32 v20, v12 offset:512
	ds_read_b32 v19, v13 offset:1024
	;; [unrolled: 1-line block ×7, first 2 shown]
	s_sub_i32 s2, s20, s22
	v_cmp_gt_u32_e32 vcc, s2, v0
	s_and_saveexec_b64 s[0:1], vcc
	s_cbranch_execnz .LBB21_106
; %bb.95:
	s_or_b64 exec, exec, s[0:1]
	v_cmp_gt_u32_e32 vcc, s2, v9
	s_and_saveexec_b64 s[0:1], vcc
	s_cbranch_execnz .LBB21_107
.LBB21_96:
	s_or_b64 exec, exec, s[0:1]
	v_cmp_gt_u32_e32 vcc, s2, v8
	s_and_saveexec_b64 s[0:1], vcc
	s_cbranch_execnz .LBB21_108
.LBB21_97:
	s_or_b64 exec, exec, s[0:1]
	v_cmp_gt_u32_e32 vcc, s2, v7
	s_and_saveexec_b64 s[0:1], vcc
	s_cbranch_execnz .LBB21_109
.LBB21_98:
	s_or_b64 exec, exec, s[0:1]
	v_cmp_gt_u32_e32 vcc, s2, v6
	s_and_saveexec_b64 s[0:1], vcc
	s_cbranch_execnz .LBB21_110
.LBB21_99:
	s_or_b64 exec, exec, s[0:1]
	v_cmp_gt_u32_e32 vcc, s2, v5
	s_and_saveexec_b64 s[0:1], vcc
	s_cbranch_execnz .LBB21_111
.LBB21_100:
	s_or_b64 exec, exec, s[0:1]
	v_cmp_gt_u32_e32 vcc, s2, v4
	s_and_saveexec_b64 s[0:1], vcc
	s_cbranch_execz .LBB21_102
.LBB21_101:
	s_waitcnt lgkmcnt(1)
	global_store_dword v[2:3], v10, off offset:3072
.LBB21_102:
	s_or_b64 exec, exec, s[0:1]
	v_cmp_gt_u32_e64 s[0:1], s2, v1
.LBB21_103:
	s_and_saveexec_b64 s[2:3], s[0:1]
	s_cbranch_execz .LBB21_105
; %bb.104:
	s_waitcnt lgkmcnt(0)
	global_store_dword v[2:3], v21, off offset:3584
.LBB21_105:
	s_endpgm
.LBB21_106:
	ds_read_b32 v0, v11
	s_waitcnt lgkmcnt(0)
	global_store_dword v[2:3], v0, off
	s_or_b64 exec, exec, s[0:1]
	v_cmp_gt_u32_e32 vcc, s2, v9
	s_and_saveexec_b64 s[0:1], vcc
	s_cbranch_execz .LBB21_96
.LBB21_107:
	s_waitcnt lgkmcnt(6)
	global_store_dword v[2:3], v20, off offset:512
	s_or_b64 exec, exec, s[0:1]
	v_cmp_gt_u32_e32 vcc, s2, v8
	s_and_saveexec_b64 s[0:1], vcc
	s_cbranch_execz .LBB21_97
.LBB21_108:
	s_waitcnt lgkmcnt(5)
	global_store_dword v[2:3], v19, off offset:1024
	s_or_b64 exec, exec, s[0:1]
	v_cmp_gt_u32_e32 vcc, s2, v7
	s_and_saveexec_b64 s[0:1], vcc
	s_cbranch_execz .LBB21_98
.LBB21_109:
	s_waitcnt lgkmcnt(4)
	global_store_dword v[2:3], v14, off offset:1536
	s_or_b64 exec, exec, s[0:1]
	v_cmp_gt_u32_e32 vcc, s2, v6
	s_and_saveexec_b64 s[0:1], vcc
	s_cbranch_execz .LBB21_99
.LBB21_110:
	s_waitcnt lgkmcnt(3)
	global_store_dword v[2:3], v13, off offset:2048
	s_or_b64 exec, exec, s[0:1]
	v_cmp_gt_u32_e32 vcc, s2, v5
	s_and_saveexec_b64 s[0:1], vcc
	s_cbranch_execz .LBB21_100
.LBB21_111:
	s_waitcnt lgkmcnt(2)
	global_store_dword v[2:3], v12, off offset:2560
	s_or_b64 exec, exec, s[0:1]
	v_cmp_gt_u32_e32 vcc, s2, v4
	s_and_saveexec_b64 s[0:1], vcc
	s_cbranch_execnz .LBB21_101
	s_branch .LBB21_102
	.section	.rodata,"a",@progbits
	.p2align	6, 0x0
	.amdhsa_kernel _ZN7rocprim17ROCPRIM_304000_NS6detail35device_block_merge_mergepath_kernelINS1_37wrapped_merge_sort_block_merge_configINS0_14default_configEiN2at4cuda3cub6detail10OpaqueTypeILi1EEEEEPiSC_PSA_SD_jNS1_19radix_merge_compareILb0ELb1EiNS0_19identity_decomposerEEEEEvT0_T1_T2_T3_T4_SL_jT5_PKSL_NS1_7vsmem_tE
		.amdhsa_group_segment_fixed_size 4224
		.amdhsa_private_segment_fixed_size 0
		.amdhsa_kernarg_size 320
		.amdhsa_user_sgpr_count 2
		.amdhsa_user_sgpr_dispatch_ptr 0
		.amdhsa_user_sgpr_queue_ptr 0
		.amdhsa_user_sgpr_kernarg_segment_ptr 1
		.amdhsa_user_sgpr_dispatch_id 0
		.amdhsa_user_sgpr_kernarg_preload_length 0
		.amdhsa_user_sgpr_kernarg_preload_offset 0
		.amdhsa_user_sgpr_private_segment_size 0
		.amdhsa_uses_dynamic_stack 0
		.amdhsa_enable_private_segment 0
		.amdhsa_system_sgpr_workgroup_id_x 1
		.amdhsa_system_sgpr_workgroup_id_y 1
		.amdhsa_system_sgpr_workgroup_id_z 1
		.amdhsa_system_sgpr_workgroup_info 0
		.amdhsa_system_vgpr_workitem_id 0
		.amdhsa_next_free_vgpr 35
		.amdhsa_next_free_sgpr 35
		.amdhsa_accum_offset 36
		.amdhsa_reserve_vcc 1
		.amdhsa_float_round_mode_32 0
		.amdhsa_float_round_mode_16_64 0
		.amdhsa_float_denorm_mode_32 3
		.amdhsa_float_denorm_mode_16_64 3
		.amdhsa_dx10_clamp 1
		.amdhsa_ieee_mode 1
		.amdhsa_fp16_overflow 0
		.amdhsa_tg_split 0
		.amdhsa_exception_fp_ieee_invalid_op 0
		.amdhsa_exception_fp_denorm_src 0
		.amdhsa_exception_fp_ieee_div_zero 0
		.amdhsa_exception_fp_ieee_overflow 0
		.amdhsa_exception_fp_ieee_underflow 0
		.amdhsa_exception_fp_ieee_inexact 0
		.amdhsa_exception_int_div_zero 0
	.end_amdhsa_kernel
	.section	.text._ZN7rocprim17ROCPRIM_304000_NS6detail35device_block_merge_mergepath_kernelINS1_37wrapped_merge_sort_block_merge_configINS0_14default_configEiN2at4cuda3cub6detail10OpaqueTypeILi1EEEEEPiSC_PSA_SD_jNS1_19radix_merge_compareILb0ELb1EiNS0_19identity_decomposerEEEEEvT0_T1_T2_T3_T4_SL_jT5_PKSL_NS1_7vsmem_tE,"axG",@progbits,_ZN7rocprim17ROCPRIM_304000_NS6detail35device_block_merge_mergepath_kernelINS1_37wrapped_merge_sort_block_merge_configINS0_14default_configEiN2at4cuda3cub6detail10OpaqueTypeILi1EEEEEPiSC_PSA_SD_jNS1_19radix_merge_compareILb0ELb1EiNS0_19identity_decomposerEEEEEvT0_T1_T2_T3_T4_SL_jT5_PKSL_NS1_7vsmem_tE,comdat
.Lfunc_end21:
	.size	_ZN7rocprim17ROCPRIM_304000_NS6detail35device_block_merge_mergepath_kernelINS1_37wrapped_merge_sort_block_merge_configINS0_14default_configEiN2at4cuda3cub6detail10OpaqueTypeILi1EEEEEPiSC_PSA_SD_jNS1_19radix_merge_compareILb0ELb1EiNS0_19identity_decomposerEEEEEvT0_T1_T2_T3_T4_SL_jT5_PKSL_NS1_7vsmem_tE, .Lfunc_end21-_ZN7rocprim17ROCPRIM_304000_NS6detail35device_block_merge_mergepath_kernelINS1_37wrapped_merge_sort_block_merge_configINS0_14default_configEiN2at4cuda3cub6detail10OpaqueTypeILi1EEEEEPiSC_PSA_SD_jNS1_19radix_merge_compareILb0ELb1EiNS0_19identity_decomposerEEEEEvT0_T1_T2_T3_T4_SL_jT5_PKSL_NS1_7vsmem_tE
                                        ; -- End function
	.set _ZN7rocprim17ROCPRIM_304000_NS6detail35device_block_merge_mergepath_kernelINS1_37wrapped_merge_sort_block_merge_configINS0_14default_configEiN2at4cuda3cub6detail10OpaqueTypeILi1EEEEEPiSC_PSA_SD_jNS1_19radix_merge_compareILb0ELb1EiNS0_19identity_decomposerEEEEEvT0_T1_T2_T3_T4_SL_jT5_PKSL_NS1_7vsmem_tE.num_vgpr, 35
	.set _ZN7rocprim17ROCPRIM_304000_NS6detail35device_block_merge_mergepath_kernelINS1_37wrapped_merge_sort_block_merge_configINS0_14default_configEiN2at4cuda3cub6detail10OpaqueTypeILi1EEEEEPiSC_PSA_SD_jNS1_19radix_merge_compareILb0ELb1EiNS0_19identity_decomposerEEEEEvT0_T1_T2_T3_T4_SL_jT5_PKSL_NS1_7vsmem_tE.num_agpr, 0
	.set _ZN7rocprim17ROCPRIM_304000_NS6detail35device_block_merge_mergepath_kernelINS1_37wrapped_merge_sort_block_merge_configINS0_14default_configEiN2at4cuda3cub6detail10OpaqueTypeILi1EEEEEPiSC_PSA_SD_jNS1_19radix_merge_compareILb0ELb1EiNS0_19identity_decomposerEEEEEvT0_T1_T2_T3_T4_SL_jT5_PKSL_NS1_7vsmem_tE.numbered_sgpr, 35
	.set _ZN7rocprim17ROCPRIM_304000_NS6detail35device_block_merge_mergepath_kernelINS1_37wrapped_merge_sort_block_merge_configINS0_14default_configEiN2at4cuda3cub6detail10OpaqueTypeILi1EEEEEPiSC_PSA_SD_jNS1_19radix_merge_compareILb0ELb1EiNS0_19identity_decomposerEEEEEvT0_T1_T2_T3_T4_SL_jT5_PKSL_NS1_7vsmem_tE.num_named_barrier, 0
	.set _ZN7rocprim17ROCPRIM_304000_NS6detail35device_block_merge_mergepath_kernelINS1_37wrapped_merge_sort_block_merge_configINS0_14default_configEiN2at4cuda3cub6detail10OpaqueTypeILi1EEEEEPiSC_PSA_SD_jNS1_19radix_merge_compareILb0ELb1EiNS0_19identity_decomposerEEEEEvT0_T1_T2_T3_T4_SL_jT5_PKSL_NS1_7vsmem_tE.private_seg_size, 0
	.set _ZN7rocprim17ROCPRIM_304000_NS6detail35device_block_merge_mergepath_kernelINS1_37wrapped_merge_sort_block_merge_configINS0_14default_configEiN2at4cuda3cub6detail10OpaqueTypeILi1EEEEEPiSC_PSA_SD_jNS1_19radix_merge_compareILb0ELb1EiNS0_19identity_decomposerEEEEEvT0_T1_T2_T3_T4_SL_jT5_PKSL_NS1_7vsmem_tE.uses_vcc, 1
	.set _ZN7rocprim17ROCPRIM_304000_NS6detail35device_block_merge_mergepath_kernelINS1_37wrapped_merge_sort_block_merge_configINS0_14default_configEiN2at4cuda3cub6detail10OpaqueTypeILi1EEEEEPiSC_PSA_SD_jNS1_19radix_merge_compareILb0ELb1EiNS0_19identity_decomposerEEEEEvT0_T1_T2_T3_T4_SL_jT5_PKSL_NS1_7vsmem_tE.uses_flat_scratch, 0
	.set _ZN7rocprim17ROCPRIM_304000_NS6detail35device_block_merge_mergepath_kernelINS1_37wrapped_merge_sort_block_merge_configINS0_14default_configEiN2at4cuda3cub6detail10OpaqueTypeILi1EEEEEPiSC_PSA_SD_jNS1_19radix_merge_compareILb0ELb1EiNS0_19identity_decomposerEEEEEvT0_T1_T2_T3_T4_SL_jT5_PKSL_NS1_7vsmem_tE.has_dyn_sized_stack, 0
	.set _ZN7rocprim17ROCPRIM_304000_NS6detail35device_block_merge_mergepath_kernelINS1_37wrapped_merge_sort_block_merge_configINS0_14default_configEiN2at4cuda3cub6detail10OpaqueTypeILi1EEEEEPiSC_PSA_SD_jNS1_19radix_merge_compareILb0ELb1EiNS0_19identity_decomposerEEEEEvT0_T1_T2_T3_T4_SL_jT5_PKSL_NS1_7vsmem_tE.has_recursion, 0
	.set _ZN7rocprim17ROCPRIM_304000_NS6detail35device_block_merge_mergepath_kernelINS1_37wrapped_merge_sort_block_merge_configINS0_14default_configEiN2at4cuda3cub6detail10OpaqueTypeILi1EEEEEPiSC_PSA_SD_jNS1_19radix_merge_compareILb0ELb1EiNS0_19identity_decomposerEEEEEvT0_T1_T2_T3_T4_SL_jT5_PKSL_NS1_7vsmem_tE.has_indirect_call, 0
	.section	.AMDGPU.csdata,"",@progbits
; Kernel info:
; codeLenInByte = 5168
; TotalNumSgprs: 41
; NumVgprs: 35
; NumAgprs: 0
; TotalNumVgprs: 35
; ScratchSize: 0
; MemoryBound: 0
; FloatMode: 240
; IeeeMode: 1
; LDSByteSize: 4224 bytes/workgroup (compile time only)
; SGPRBlocks: 5
; VGPRBlocks: 4
; NumSGPRsForWavesPerEU: 41
; NumVGPRsForWavesPerEU: 35
; AccumOffset: 36
; Occupancy: 8
; WaveLimiterHint : 1
; COMPUTE_PGM_RSRC2:SCRATCH_EN: 0
; COMPUTE_PGM_RSRC2:USER_SGPR: 2
; COMPUTE_PGM_RSRC2:TRAP_HANDLER: 0
; COMPUTE_PGM_RSRC2:TGID_X_EN: 1
; COMPUTE_PGM_RSRC2:TGID_Y_EN: 1
; COMPUTE_PGM_RSRC2:TGID_Z_EN: 1
; COMPUTE_PGM_RSRC2:TIDIG_COMP_CNT: 0
; COMPUTE_PGM_RSRC3_GFX90A:ACCUM_OFFSET: 8
; COMPUTE_PGM_RSRC3_GFX90A:TG_SPLIT: 0
	.section	.text._ZN7rocprim17ROCPRIM_304000_NS6detail33device_block_merge_oddeven_kernelINS1_37wrapped_merge_sort_block_merge_configINS0_14default_configEiN2at4cuda3cub6detail10OpaqueTypeILi1EEEEEPiSC_PSA_SD_jNS1_19radix_merge_compareILb0ELb1EiNS0_19identity_decomposerEEEEEvT0_T1_T2_T3_T4_SL_T5_,"axG",@progbits,_ZN7rocprim17ROCPRIM_304000_NS6detail33device_block_merge_oddeven_kernelINS1_37wrapped_merge_sort_block_merge_configINS0_14default_configEiN2at4cuda3cub6detail10OpaqueTypeILi1EEEEEPiSC_PSA_SD_jNS1_19radix_merge_compareILb0ELb1EiNS0_19identity_decomposerEEEEEvT0_T1_T2_T3_T4_SL_T5_,comdat
	.protected	_ZN7rocprim17ROCPRIM_304000_NS6detail33device_block_merge_oddeven_kernelINS1_37wrapped_merge_sort_block_merge_configINS0_14default_configEiN2at4cuda3cub6detail10OpaqueTypeILi1EEEEEPiSC_PSA_SD_jNS1_19radix_merge_compareILb0ELb1EiNS0_19identity_decomposerEEEEEvT0_T1_T2_T3_T4_SL_T5_ ; -- Begin function _ZN7rocprim17ROCPRIM_304000_NS6detail33device_block_merge_oddeven_kernelINS1_37wrapped_merge_sort_block_merge_configINS0_14default_configEiN2at4cuda3cub6detail10OpaqueTypeILi1EEEEEPiSC_PSA_SD_jNS1_19radix_merge_compareILb0ELb1EiNS0_19identity_decomposerEEEEEvT0_T1_T2_T3_T4_SL_T5_
	.globl	_ZN7rocprim17ROCPRIM_304000_NS6detail33device_block_merge_oddeven_kernelINS1_37wrapped_merge_sort_block_merge_configINS0_14default_configEiN2at4cuda3cub6detail10OpaqueTypeILi1EEEEEPiSC_PSA_SD_jNS1_19radix_merge_compareILb0ELb1EiNS0_19identity_decomposerEEEEEvT0_T1_T2_T3_T4_SL_T5_
	.p2align	8
	.type	_ZN7rocprim17ROCPRIM_304000_NS6detail33device_block_merge_oddeven_kernelINS1_37wrapped_merge_sort_block_merge_configINS0_14default_configEiN2at4cuda3cub6detail10OpaqueTypeILi1EEEEEPiSC_PSA_SD_jNS1_19radix_merge_compareILb0ELb1EiNS0_19identity_decomposerEEEEEvT0_T1_T2_T3_T4_SL_T5_,@function
_ZN7rocprim17ROCPRIM_304000_NS6detail33device_block_merge_oddeven_kernelINS1_37wrapped_merge_sort_block_merge_configINS0_14default_configEiN2at4cuda3cub6detail10OpaqueTypeILi1EEEEEPiSC_PSA_SD_jNS1_19radix_merge_compareILb0ELb1EiNS0_19identity_decomposerEEEEEvT0_T1_T2_T3_T4_SL_T5_: ; @_ZN7rocprim17ROCPRIM_304000_NS6detail33device_block_merge_oddeven_kernelINS1_37wrapped_merge_sort_block_merge_configINS0_14default_configEiN2at4cuda3cub6detail10OpaqueTypeILi1EEEEEPiSC_PSA_SD_jNS1_19radix_merge_compareILb0ELb1EiNS0_19identity_decomposerEEEEEvT0_T1_T2_T3_T4_SL_T5_
; %bb.0:
	s_load_dwordx4 s[16:19], s[0:1], 0x20
	s_waitcnt lgkmcnt(0)
	s_lshr_b32 s3, s16, 8
	s_cmp_eq_u32 s2, s3
	s_cselect_b64 s[6:7], -1, 0
	s_cmp_lg_u32 s2, s3
	s_cselect_b64 s[8:9], -1, 0
	s_lshl_b32 s20, s2, 8
	s_sub_i32 s3, s16, s20
	v_cmp_gt_u32_e64 s[4:5], s3, v0
	s_or_b64 s[8:9], s[8:9], s[4:5]
	s_and_saveexec_b64 s[10:11], s[8:9]
	s_cbranch_execz .LBB22_24
; %bb.1:
	s_load_dwordx8 s[8:15], s[0:1], 0x0
	s_mov_b32 s21, 0
	s_lshl_b64 s[0:1], s[20:21], 2
	v_lshlrev_b32_e32 v1, 2, v0
	s_waitcnt lgkmcnt(0)
	s_add_u32 s0, s8, s0
	s_addc_u32 s1, s9, s1
	s_add_u32 s12, s12, s20
	s_addc_u32 s13, s13, 0
	global_load_ubyte v2, v0, s[12:13]
	global_load_dword v3, v1, s[0:1]
	s_lshr_b32 s0, s17, 8
	s_sub_i32 s1, 0, s0
	s_and_b32 s1, s2, s1
	s_and_b32 s0, s1, s0
	s_lshl_b32 s19, s1, 8
	s_sub_i32 s12, 0, s17
	s_cmp_eq_u32 s0, 0
	s_cselect_b64 s[0:1], -1, 0
	s_and_b64 s[2:3], s[0:1], exec
	s_cselect_b32 s12, s17, s12
	s_add_i32 s12, s12, s19
	s_mov_b64 s[2:3], -1
	s_cmp_gt_u32 s16, s12
	v_add_u32_e32 v0, s20, v0
	s_cbranch_scc1 .LBB22_9
; %bb.2:
	s_and_b64 vcc, exec, s[6:7]
	s_cbranch_vccz .LBB22_6
; %bb.3:
	v_cmp_gt_u32_e32 vcc, s16, v0
	s_and_saveexec_b64 s[2:3], vcc
	s_cbranch_execz .LBB22_5
; %bb.4:
	v_mov_b32_e32 v1, 0
	v_lshl_add_u64 v[4:5], v[0:1], 2, s[10:11]
	s_waitcnt vmcnt(0)
	global_store_dword v[4:5], v3, off
	global_store_byte v0, v2, s[14:15]
.LBB22_5:
	s_or_b64 exec, exec, s[2:3]
	s_mov_b64 s[2:3], 0
.LBB22_6:
	s_andn2_b64 vcc, exec, s[2:3]
	s_cbranch_vccnz .LBB22_8
; %bb.7:
	v_mov_b32_e32 v1, 0
	v_lshl_add_u64 v[4:5], v[0:1], 2, s[10:11]
	s_waitcnt vmcnt(0)
	global_store_dword v[4:5], v3, off
	global_store_byte v0, v2, s[14:15]
.LBB22_8:
	s_mov_b64 s[2:3], 0
.LBB22_9:
	s_andn2_b64 vcc, exec, s[2:3]
	s_cbranch_vccnz .LBB22_24
; %bb.10:
	s_min_u32 s13, s12, s16
	s_add_i32 s2, s13, s17
	s_min_u32 s16, s2, s16
	s_min_u32 s2, s19, s13
	s_add_i32 s19, s19, s13
	v_subrev_u32_e32 v0, s19, v0
	v_add_u32_e32 v4, s2, v0
	s_waitcnt vmcnt(0)
	v_and_b32_e32 v5, s18, v3
	s_mov_b64 s[2:3], -1
	s_and_b64 vcc, exec, s[6:7]
	s_cbranch_vccz .LBB22_18
; %bb.11:
	s_and_saveexec_b64 s[2:3], s[4:5]
	s_cbranch_execz .LBB22_17
; %bb.12:
	s_cmp_ge_u32 s12, s16
	v_mov_b32_e32 v6, s13
	s_cbranch_scc1 .LBB22_16
; %bb.13:
	s_mov_b64 s[4:5], 0
	v_mov_b32_e32 v7, s16
	v_mov_b32_e32 v6, s13
	;; [unrolled: 1-line block ×3, first 2 shown]
.LBB22_14:                              ; =>This Inner Loop Header: Depth=1
	v_add_u32_e32 v0, v6, v7
	v_lshrrev_b32_e32 v0, 1, v0
	v_lshl_add_u64 v[8:9], v[0:1], 2, s[8:9]
	global_load_dword v8, v[8:9], off
	v_add_u32_e32 v9, 1, v0
	s_waitcnt vmcnt(0)
	v_and_b32_e32 v8, s18, v8
	v_cmp_gt_i32_e32 vcc, v5, v8
	s_nop 1
	v_cndmask_b32_e64 v10, 0, 1, vcc
	v_cmp_le_i32_e32 vcc, v8, v5
	s_nop 1
	v_cndmask_b32_e64 v8, 0, 1, vcc
	v_cndmask_b32_e64 v8, v8, v10, s[0:1]
	v_and_b32_e32 v8, 1, v8
	v_cmp_eq_u32_e32 vcc, 1, v8
	s_nop 1
	v_cndmask_b32_e32 v7, v0, v7, vcc
	v_cndmask_b32_e32 v6, v6, v9, vcc
	v_cmp_ge_u32_e32 vcc, v6, v7
	s_or_b64 s[4:5], vcc, s[4:5]
	s_andn2_b64 exec, exec, s[4:5]
	s_cbranch_execnz .LBB22_14
; %bb.15:
	s_or_b64 exec, exec, s[4:5]
.LBB22_16:
	v_add_u32_e32 v0, v6, v4
	v_mov_b32_e32 v1, 0
	v_lshl_add_u64 v[6:7], v[0:1], 2, s[10:11]
	global_store_dword v[6:7], v3, off
	global_store_byte v0, v2, s[14:15]
.LBB22_17:
	s_or_b64 exec, exec, s[2:3]
	s_mov_b64 s[2:3], 0
.LBB22_18:
	s_andn2_b64 vcc, exec, s[2:3]
	s_cbranch_vccnz .LBB22_24
; %bb.19:
	s_cmp_ge_u32 s12, s16
	v_mov_b32_e32 v6, s13
	s_cbranch_scc1 .LBB22_23
; %bb.20:
	s_mov_b64 s[2:3], 0
	v_mov_b32_e32 v7, s16
	v_mov_b32_e32 v6, s13
	;; [unrolled: 1-line block ×3, first 2 shown]
.LBB22_21:                              ; =>This Inner Loop Header: Depth=1
	v_add_u32_e32 v0, v6, v7
	v_lshrrev_b32_e32 v0, 1, v0
	v_lshl_add_u64 v[8:9], v[0:1], 2, s[8:9]
	global_load_dword v8, v[8:9], off
	v_add_u32_e32 v9, 1, v0
	s_waitcnt vmcnt(0)
	v_and_b32_e32 v8, s18, v8
	v_cmp_gt_i32_e32 vcc, v5, v8
	s_nop 1
	v_cndmask_b32_e64 v10, 0, 1, vcc
	v_cmp_le_i32_e32 vcc, v8, v5
	s_nop 1
	v_cndmask_b32_e64 v8, 0, 1, vcc
	v_cndmask_b32_e64 v8, v8, v10, s[0:1]
	v_and_b32_e32 v8, 1, v8
	v_cmp_eq_u32_e32 vcc, 1, v8
	s_nop 1
	v_cndmask_b32_e32 v7, v0, v7, vcc
	v_cndmask_b32_e32 v6, v6, v9, vcc
	v_cmp_ge_u32_e32 vcc, v6, v7
	s_or_b64 s[2:3], vcc, s[2:3]
	s_andn2_b64 exec, exec, s[2:3]
	s_cbranch_execnz .LBB22_21
; %bb.22:
	s_or_b64 exec, exec, s[2:3]
.LBB22_23:
	v_add_u32_e32 v0, v6, v4
	v_mov_b32_e32 v1, 0
	v_lshl_add_u64 v[4:5], v[0:1], 2, s[10:11]
	global_store_dword v[4:5], v3, off
	global_store_byte v0, v2, s[14:15]
.LBB22_24:
	s_endpgm
	.section	.rodata,"a",@progbits
	.p2align	6, 0x0
	.amdhsa_kernel _ZN7rocprim17ROCPRIM_304000_NS6detail33device_block_merge_oddeven_kernelINS1_37wrapped_merge_sort_block_merge_configINS0_14default_configEiN2at4cuda3cub6detail10OpaqueTypeILi1EEEEEPiSC_PSA_SD_jNS1_19radix_merge_compareILb0ELb1EiNS0_19identity_decomposerEEEEEvT0_T1_T2_T3_T4_SL_T5_
		.amdhsa_group_segment_fixed_size 0
		.amdhsa_private_segment_fixed_size 0
		.amdhsa_kernarg_size 44
		.amdhsa_user_sgpr_count 2
		.amdhsa_user_sgpr_dispatch_ptr 0
		.amdhsa_user_sgpr_queue_ptr 0
		.amdhsa_user_sgpr_kernarg_segment_ptr 1
		.amdhsa_user_sgpr_dispatch_id 0
		.amdhsa_user_sgpr_kernarg_preload_length 0
		.amdhsa_user_sgpr_kernarg_preload_offset 0
		.amdhsa_user_sgpr_private_segment_size 0
		.amdhsa_uses_dynamic_stack 0
		.amdhsa_enable_private_segment 0
		.amdhsa_system_sgpr_workgroup_id_x 1
		.amdhsa_system_sgpr_workgroup_id_y 0
		.amdhsa_system_sgpr_workgroup_id_z 0
		.amdhsa_system_sgpr_workgroup_info 0
		.amdhsa_system_vgpr_workitem_id 0
		.amdhsa_next_free_vgpr 11
		.amdhsa_next_free_sgpr 22
		.amdhsa_accum_offset 12
		.amdhsa_reserve_vcc 1
		.amdhsa_float_round_mode_32 0
		.amdhsa_float_round_mode_16_64 0
		.amdhsa_float_denorm_mode_32 3
		.amdhsa_float_denorm_mode_16_64 3
		.amdhsa_dx10_clamp 1
		.amdhsa_ieee_mode 1
		.amdhsa_fp16_overflow 0
		.amdhsa_tg_split 0
		.amdhsa_exception_fp_ieee_invalid_op 0
		.amdhsa_exception_fp_denorm_src 0
		.amdhsa_exception_fp_ieee_div_zero 0
		.amdhsa_exception_fp_ieee_overflow 0
		.amdhsa_exception_fp_ieee_underflow 0
		.amdhsa_exception_fp_ieee_inexact 0
		.amdhsa_exception_int_div_zero 0
	.end_amdhsa_kernel
	.section	.text._ZN7rocprim17ROCPRIM_304000_NS6detail33device_block_merge_oddeven_kernelINS1_37wrapped_merge_sort_block_merge_configINS0_14default_configEiN2at4cuda3cub6detail10OpaqueTypeILi1EEEEEPiSC_PSA_SD_jNS1_19radix_merge_compareILb0ELb1EiNS0_19identity_decomposerEEEEEvT0_T1_T2_T3_T4_SL_T5_,"axG",@progbits,_ZN7rocprim17ROCPRIM_304000_NS6detail33device_block_merge_oddeven_kernelINS1_37wrapped_merge_sort_block_merge_configINS0_14default_configEiN2at4cuda3cub6detail10OpaqueTypeILi1EEEEEPiSC_PSA_SD_jNS1_19radix_merge_compareILb0ELb1EiNS0_19identity_decomposerEEEEEvT0_T1_T2_T3_T4_SL_T5_,comdat
.Lfunc_end22:
	.size	_ZN7rocprim17ROCPRIM_304000_NS6detail33device_block_merge_oddeven_kernelINS1_37wrapped_merge_sort_block_merge_configINS0_14default_configEiN2at4cuda3cub6detail10OpaqueTypeILi1EEEEEPiSC_PSA_SD_jNS1_19radix_merge_compareILb0ELb1EiNS0_19identity_decomposerEEEEEvT0_T1_T2_T3_T4_SL_T5_, .Lfunc_end22-_ZN7rocprim17ROCPRIM_304000_NS6detail33device_block_merge_oddeven_kernelINS1_37wrapped_merge_sort_block_merge_configINS0_14default_configEiN2at4cuda3cub6detail10OpaqueTypeILi1EEEEEPiSC_PSA_SD_jNS1_19radix_merge_compareILb0ELb1EiNS0_19identity_decomposerEEEEEvT0_T1_T2_T3_T4_SL_T5_
                                        ; -- End function
	.set _ZN7rocprim17ROCPRIM_304000_NS6detail33device_block_merge_oddeven_kernelINS1_37wrapped_merge_sort_block_merge_configINS0_14default_configEiN2at4cuda3cub6detail10OpaqueTypeILi1EEEEEPiSC_PSA_SD_jNS1_19radix_merge_compareILb0ELb1EiNS0_19identity_decomposerEEEEEvT0_T1_T2_T3_T4_SL_T5_.num_vgpr, 11
	.set _ZN7rocprim17ROCPRIM_304000_NS6detail33device_block_merge_oddeven_kernelINS1_37wrapped_merge_sort_block_merge_configINS0_14default_configEiN2at4cuda3cub6detail10OpaqueTypeILi1EEEEEPiSC_PSA_SD_jNS1_19radix_merge_compareILb0ELb1EiNS0_19identity_decomposerEEEEEvT0_T1_T2_T3_T4_SL_T5_.num_agpr, 0
	.set _ZN7rocprim17ROCPRIM_304000_NS6detail33device_block_merge_oddeven_kernelINS1_37wrapped_merge_sort_block_merge_configINS0_14default_configEiN2at4cuda3cub6detail10OpaqueTypeILi1EEEEEPiSC_PSA_SD_jNS1_19radix_merge_compareILb0ELb1EiNS0_19identity_decomposerEEEEEvT0_T1_T2_T3_T4_SL_T5_.numbered_sgpr, 22
	.set _ZN7rocprim17ROCPRIM_304000_NS6detail33device_block_merge_oddeven_kernelINS1_37wrapped_merge_sort_block_merge_configINS0_14default_configEiN2at4cuda3cub6detail10OpaqueTypeILi1EEEEEPiSC_PSA_SD_jNS1_19radix_merge_compareILb0ELb1EiNS0_19identity_decomposerEEEEEvT0_T1_T2_T3_T4_SL_T5_.num_named_barrier, 0
	.set _ZN7rocprim17ROCPRIM_304000_NS6detail33device_block_merge_oddeven_kernelINS1_37wrapped_merge_sort_block_merge_configINS0_14default_configEiN2at4cuda3cub6detail10OpaqueTypeILi1EEEEEPiSC_PSA_SD_jNS1_19radix_merge_compareILb0ELb1EiNS0_19identity_decomposerEEEEEvT0_T1_T2_T3_T4_SL_T5_.private_seg_size, 0
	.set _ZN7rocprim17ROCPRIM_304000_NS6detail33device_block_merge_oddeven_kernelINS1_37wrapped_merge_sort_block_merge_configINS0_14default_configEiN2at4cuda3cub6detail10OpaqueTypeILi1EEEEEPiSC_PSA_SD_jNS1_19radix_merge_compareILb0ELb1EiNS0_19identity_decomposerEEEEEvT0_T1_T2_T3_T4_SL_T5_.uses_vcc, 1
	.set _ZN7rocprim17ROCPRIM_304000_NS6detail33device_block_merge_oddeven_kernelINS1_37wrapped_merge_sort_block_merge_configINS0_14default_configEiN2at4cuda3cub6detail10OpaqueTypeILi1EEEEEPiSC_PSA_SD_jNS1_19radix_merge_compareILb0ELb1EiNS0_19identity_decomposerEEEEEvT0_T1_T2_T3_T4_SL_T5_.uses_flat_scratch, 0
	.set _ZN7rocprim17ROCPRIM_304000_NS6detail33device_block_merge_oddeven_kernelINS1_37wrapped_merge_sort_block_merge_configINS0_14default_configEiN2at4cuda3cub6detail10OpaqueTypeILi1EEEEEPiSC_PSA_SD_jNS1_19radix_merge_compareILb0ELb1EiNS0_19identity_decomposerEEEEEvT0_T1_T2_T3_T4_SL_T5_.has_dyn_sized_stack, 0
	.set _ZN7rocprim17ROCPRIM_304000_NS6detail33device_block_merge_oddeven_kernelINS1_37wrapped_merge_sort_block_merge_configINS0_14default_configEiN2at4cuda3cub6detail10OpaqueTypeILi1EEEEEPiSC_PSA_SD_jNS1_19radix_merge_compareILb0ELb1EiNS0_19identity_decomposerEEEEEvT0_T1_T2_T3_T4_SL_T5_.has_recursion, 0
	.set _ZN7rocprim17ROCPRIM_304000_NS6detail33device_block_merge_oddeven_kernelINS1_37wrapped_merge_sort_block_merge_configINS0_14default_configEiN2at4cuda3cub6detail10OpaqueTypeILi1EEEEEPiSC_PSA_SD_jNS1_19radix_merge_compareILb0ELb1EiNS0_19identity_decomposerEEEEEvT0_T1_T2_T3_T4_SL_T5_.has_indirect_call, 0
	.section	.AMDGPU.csdata,"",@progbits
; Kernel info:
; codeLenInByte = 716
; TotalNumSgprs: 28
; NumVgprs: 11
; NumAgprs: 0
; TotalNumVgprs: 11
; ScratchSize: 0
; MemoryBound: 0
; FloatMode: 240
; IeeeMode: 1
; LDSByteSize: 0 bytes/workgroup (compile time only)
; SGPRBlocks: 3
; VGPRBlocks: 1
; NumSGPRsForWavesPerEU: 28
; NumVGPRsForWavesPerEU: 11
; AccumOffset: 12
; Occupancy: 8
; WaveLimiterHint : 0
; COMPUTE_PGM_RSRC2:SCRATCH_EN: 0
; COMPUTE_PGM_RSRC2:USER_SGPR: 2
; COMPUTE_PGM_RSRC2:TRAP_HANDLER: 0
; COMPUTE_PGM_RSRC2:TGID_X_EN: 1
; COMPUTE_PGM_RSRC2:TGID_Y_EN: 0
; COMPUTE_PGM_RSRC2:TGID_Z_EN: 0
; COMPUTE_PGM_RSRC2:TIDIG_COMP_CNT: 0
; COMPUTE_PGM_RSRC3_GFX90A:ACCUM_OFFSET: 2
; COMPUTE_PGM_RSRC3_GFX90A:TG_SPLIT: 0
	.section	.text._ZN7rocprim17ROCPRIM_304000_NS6detail26onesweep_histograms_kernelINS1_34wrapped_radix_sort_onesweep_configINS0_14default_configEiN2at4cuda3cub6detail10OpaqueTypeILi1EEEEELb0EPKimNS0_19identity_decomposerEEEvT1_PT2_SG_SG_T3_jj,"axG",@progbits,_ZN7rocprim17ROCPRIM_304000_NS6detail26onesweep_histograms_kernelINS1_34wrapped_radix_sort_onesweep_configINS0_14default_configEiN2at4cuda3cub6detail10OpaqueTypeILi1EEEEELb0EPKimNS0_19identity_decomposerEEEvT1_PT2_SG_SG_T3_jj,comdat
	.protected	_ZN7rocprim17ROCPRIM_304000_NS6detail26onesweep_histograms_kernelINS1_34wrapped_radix_sort_onesweep_configINS0_14default_configEiN2at4cuda3cub6detail10OpaqueTypeILi1EEEEELb0EPKimNS0_19identity_decomposerEEEvT1_PT2_SG_SG_T3_jj ; -- Begin function _ZN7rocprim17ROCPRIM_304000_NS6detail26onesweep_histograms_kernelINS1_34wrapped_radix_sort_onesweep_configINS0_14default_configEiN2at4cuda3cub6detail10OpaqueTypeILi1EEEEELb0EPKimNS0_19identity_decomposerEEEvT1_PT2_SG_SG_T3_jj
	.globl	_ZN7rocprim17ROCPRIM_304000_NS6detail26onesweep_histograms_kernelINS1_34wrapped_radix_sort_onesweep_configINS0_14default_configEiN2at4cuda3cub6detail10OpaqueTypeILi1EEEEELb0EPKimNS0_19identity_decomposerEEEvT1_PT2_SG_SG_T3_jj
	.p2align	8
	.type	_ZN7rocprim17ROCPRIM_304000_NS6detail26onesweep_histograms_kernelINS1_34wrapped_radix_sort_onesweep_configINS0_14default_configEiN2at4cuda3cub6detail10OpaqueTypeILi1EEEEELb0EPKimNS0_19identity_decomposerEEEvT1_PT2_SG_SG_T3_jj,@function
_ZN7rocprim17ROCPRIM_304000_NS6detail26onesweep_histograms_kernelINS1_34wrapped_radix_sort_onesweep_configINS0_14default_configEiN2at4cuda3cub6detail10OpaqueTypeILi1EEEEELb0EPKimNS0_19identity_decomposerEEEvT1_PT2_SG_SG_T3_jj: ; @_ZN7rocprim17ROCPRIM_304000_NS6detail26onesweep_histograms_kernelINS1_34wrapped_radix_sort_onesweep_configINS0_14default_configEiN2at4cuda3cub6detail10OpaqueTypeILi1EEEEELb0EPKimNS0_19identity_decomposerEEEvT1_PT2_SG_SG_T3_jj
; %bb.0:
	s_load_dwordx8 s[44:51], s[0:1], 0x0
	s_load_dwordx2 s[52:53], s[0:1], 0x24
	v_mov_b32_e32 v4, s2
	v_mov_b32_e32 v5, 0
	s_mul_hi_u32 s0, s2, 0x5800
	s_mulk_i32 s2, 0x5800
	s_waitcnt lgkmcnt(0)
	v_cmp_le_u64_e32 vcc, s[50:51], v[4:5]
	s_add_u32 s54, s44, s2
	s_addc_u32 s55, s45, s0
	s_mov_b64 s[0:1], -1
	v_lshlrev_b32_e32 v2, 2, v0
	s_cbranch_vccz .LBB23_142
; %bb.1:
	s_mul_i32 s33, s50, 0xffffea00
	s_add_i32 s33, s33, s48
	v_lshlrev_b32_e32 v4, 2, v0
	v_lshl_add_u64 v[6:7], s[54:55], 0, v[4:5]
	v_cmp_gt_u32_e64 s[44:45], s33, v0
                                        ; implicit-def: $vgpr26
	s_and_saveexec_b64 s[0:1], s[44:45]
	s_cbranch_execz .LBB23_3
; %bb.2:
	global_load_dword v1, v[6:7], off
	s_waitcnt vmcnt(0)
	v_xor_b32_e32 v26, 0x80000000, v1
.LBB23_3:
	s_or_b64 exec, exec, s[0:1]
	v_or_b32_e32 v1, 0x100, v0
	v_cmp_gt_u32_e64 s[42:43], s33, v1
                                        ; implicit-def: $vgpr25
	s_and_saveexec_b64 s[0:1], s[42:43]
	s_cbranch_execz .LBB23_5
; %bb.4:
	global_load_dword v1, v[6:7], off offset:1024
	s_waitcnt vmcnt(0)
	v_xor_b32_e32 v25, 0x80000000, v1
.LBB23_5:
	s_or_b64 exec, exec, s[0:1]
	v_or_b32_e32 v1, 0x200, v0
	v_cmp_gt_u32_e64 s[40:41], s33, v1
                                        ; implicit-def: $vgpr24
	s_and_saveexec_b64 s[0:1], s[40:41]
	s_cbranch_execz .LBB23_7
; %bb.6:
	global_load_dword v1, v[6:7], off offset:2048
	s_waitcnt vmcnt(0)
	v_xor_b32_e32 v24, 0x80000000, v1
.LBB23_7:
	s_or_b64 exec, exec, s[0:1]
	v_or_b32_e32 v1, 0x300, v0
	v_cmp_gt_u32_e64 s[38:39], s33, v1
                                        ; implicit-def: $vgpr23
	s_and_saveexec_b64 s[0:1], s[38:39]
	s_cbranch_execz .LBB23_9
; %bb.8:
	global_load_dword v1, v[6:7], off offset:3072
	s_waitcnt vmcnt(0)
	v_xor_b32_e32 v23, 0x80000000, v1
.LBB23_9:
	s_or_b64 exec, exec, s[0:1]
	v_or_b32_e32 v1, 0x400, v0
	v_cmp_gt_u32_e64 s[36:37], s33, v1
                                        ; implicit-def: $vgpr22
	s_and_saveexec_b64 s[0:1], s[36:37]
	s_cbranch_execz .LBB23_11
; %bb.10:
	v_add_co_u32_e32 v8, vcc, 0x1000, v6
	s_nop 1
	v_addc_co_u32_e32 v9, vcc, 0, v7, vcc
	global_load_dword v1, v[8:9], off
	s_waitcnt vmcnt(0)
	v_xor_b32_e32 v22, 0x80000000, v1
.LBB23_11:
	s_or_b64 exec, exec, s[0:1]
	v_or_b32_e32 v1, 0x500, v0
	v_cmp_gt_u32_e64 s[34:35], s33, v1
                                        ; implicit-def: $vgpr21
	s_and_saveexec_b64 s[0:1], s[34:35]
	s_cbranch_execz .LBB23_13
; %bb.12:
	v_add_co_u32_e32 v8, vcc, 0x1000, v6
	s_nop 1
	v_addc_co_u32_e32 v9, vcc, 0, v7, vcc
	global_load_dword v1, v[8:9], off offset:1024
	s_waitcnt vmcnt(0)
	v_xor_b32_e32 v21, 0x80000000, v1
.LBB23_13:
	s_or_b64 exec, exec, s[0:1]
	v_or_b32_e32 v1, 0x600, v0
	v_cmp_gt_u32_e64 s[30:31], s33, v1
                                        ; implicit-def: $vgpr20
	s_and_saveexec_b64 s[0:1], s[30:31]
	s_cbranch_execz .LBB23_15
; %bb.14:
	v_add_co_u32_e32 v8, vcc, 0x1000, v6
	s_nop 1
	v_addc_co_u32_e32 v9, vcc, 0, v7, vcc
	global_load_dword v1, v[8:9], off offset:2048
	s_waitcnt vmcnt(0)
	v_xor_b32_e32 v20, 0x80000000, v1
.LBB23_15:
	s_or_b64 exec, exec, s[0:1]
	v_or_b32_e32 v1, 0x700, v0
	v_cmp_gt_u32_e64 s[28:29], s33, v1
                                        ; implicit-def: $vgpr19
	s_and_saveexec_b64 s[0:1], s[28:29]
	s_cbranch_execz .LBB23_17
; %bb.16:
	v_add_co_u32_e32 v8, vcc, 0x1000, v6
	s_nop 1
	v_addc_co_u32_e32 v9, vcc, 0, v7, vcc
	global_load_dword v1, v[8:9], off offset:3072
	s_waitcnt vmcnt(0)
	v_xor_b32_e32 v19, 0x80000000, v1
.LBB23_17:
	s_or_b64 exec, exec, s[0:1]
	v_or_b32_e32 v1, 0x800, v0
	v_cmp_gt_u32_e64 s[26:27], s33, v1
                                        ; implicit-def: $vgpr18
	s_and_saveexec_b64 s[0:1], s[26:27]
	s_cbranch_execz .LBB23_19
; %bb.18:
	v_add_co_u32_e32 v8, vcc, 0x2000, v6
	s_nop 1
	v_addc_co_u32_e32 v9, vcc, 0, v7, vcc
	global_load_dword v1, v[8:9], off
	s_waitcnt vmcnt(0)
	v_xor_b32_e32 v18, 0x80000000, v1
.LBB23_19:
	s_or_b64 exec, exec, s[0:1]
	v_or_b32_e32 v1, 0x900, v0
	v_cmp_gt_u32_e64 s[24:25], s33, v1
                                        ; implicit-def: $vgpr17
	s_and_saveexec_b64 s[0:1], s[24:25]
	s_cbranch_execz .LBB23_21
; %bb.20:
	v_add_co_u32_e32 v8, vcc, 0x2000, v6
	s_nop 1
	v_addc_co_u32_e32 v9, vcc, 0, v7, vcc
	global_load_dword v1, v[8:9], off offset:1024
	s_waitcnt vmcnt(0)
	v_xor_b32_e32 v17, 0x80000000, v1
.LBB23_21:
	s_or_b64 exec, exec, s[0:1]
	v_or_b32_e32 v1, 0xa00, v0
	v_cmp_gt_u32_e64 s[22:23], s33, v1
                                        ; implicit-def: $vgpr16
	s_and_saveexec_b64 s[0:1], s[22:23]
	s_cbranch_execz .LBB23_23
; %bb.22:
	v_add_co_u32_e32 v8, vcc, 0x2000, v6
	s_nop 1
	v_addc_co_u32_e32 v9, vcc, 0, v7, vcc
	global_load_dword v1, v[8:9], off offset:2048
	s_waitcnt vmcnt(0)
	v_xor_b32_e32 v16, 0x80000000, v1
.LBB23_23:
	s_or_b64 exec, exec, s[0:1]
	v_or_b32_e32 v1, 0xb00, v0
	v_cmp_gt_u32_e64 s[20:21], s33, v1
                                        ; implicit-def: $vgpr15
	s_and_saveexec_b64 s[0:1], s[20:21]
	s_cbranch_execz .LBB23_25
; %bb.24:
	v_add_co_u32_e32 v8, vcc, 0x2000, v6
	s_nop 1
	v_addc_co_u32_e32 v9, vcc, 0, v7, vcc
	global_load_dword v1, v[8:9], off offset:3072
	s_waitcnt vmcnt(0)
	v_xor_b32_e32 v15, 0x80000000, v1
.LBB23_25:
	s_or_b64 exec, exec, s[0:1]
	v_or_b32_e32 v1, 0xc00, v0
	v_cmp_gt_u32_e64 s[18:19], s33, v1
                                        ; implicit-def: $vgpr14
	s_and_saveexec_b64 s[0:1], s[18:19]
	s_cbranch_execz .LBB23_27
; %bb.26:
	v_add_co_u32_e32 v8, vcc, 0x3000, v6
	s_nop 1
	v_addc_co_u32_e32 v9, vcc, 0, v7, vcc
	global_load_dword v1, v[8:9], off
	s_waitcnt vmcnt(0)
	v_xor_b32_e32 v14, 0x80000000, v1
.LBB23_27:
	s_or_b64 exec, exec, s[0:1]
	v_or_b32_e32 v1, 0xd00, v0
	v_cmp_gt_u32_e64 s[16:17], s33, v1
                                        ; implicit-def: $vgpr13
	s_and_saveexec_b64 s[0:1], s[16:17]
	s_cbranch_execz .LBB23_29
; %bb.28:
	v_add_co_u32_e32 v8, vcc, 0x3000, v6
	s_nop 1
	v_addc_co_u32_e32 v9, vcc, 0, v7, vcc
	global_load_dword v1, v[8:9], off offset:1024
	s_waitcnt vmcnt(0)
	v_xor_b32_e32 v13, 0x80000000, v1
.LBB23_29:
	s_or_b64 exec, exec, s[0:1]
	v_or_b32_e32 v1, 0xe00, v0
	v_cmp_gt_u32_e64 s[14:15], s33, v1
                                        ; implicit-def: $vgpr12
	s_and_saveexec_b64 s[0:1], s[14:15]
	s_cbranch_execz .LBB23_31
; %bb.30:
	v_add_co_u32_e32 v8, vcc, 0x3000, v6
	s_nop 1
	v_addc_co_u32_e32 v9, vcc, 0, v7, vcc
	global_load_dword v1, v[8:9], off offset:2048
	s_waitcnt vmcnt(0)
	v_xor_b32_e32 v12, 0x80000000, v1
.LBB23_31:
	s_or_b64 exec, exec, s[0:1]
	v_or_b32_e32 v1, 0xf00, v0
	v_cmp_gt_u32_e64 s[12:13], s33, v1
                                        ; implicit-def: $vgpr11
	s_and_saveexec_b64 s[0:1], s[12:13]
	s_cbranch_execz .LBB23_33
; %bb.32:
	v_add_co_u32_e32 v8, vcc, 0x3000, v6
	s_nop 1
	v_addc_co_u32_e32 v9, vcc, 0, v7, vcc
	global_load_dword v1, v[8:9], off offset:3072
	s_waitcnt vmcnt(0)
	v_xor_b32_e32 v11, 0x80000000, v1
.LBB23_33:
	s_or_b64 exec, exec, s[0:1]
	v_or_b32_e32 v1, 0x1000, v0
	v_cmp_gt_u32_e64 s[10:11], s33, v1
                                        ; implicit-def: $vgpr10
	s_and_saveexec_b64 s[0:1], s[10:11]
	s_cbranch_execz .LBB23_35
; %bb.34:
	v_add_co_u32_e32 v8, vcc, 0x4000, v6
	s_nop 1
	v_addc_co_u32_e32 v9, vcc, 0, v7, vcc
	global_load_dword v1, v[8:9], off
	s_waitcnt vmcnt(0)
	v_xor_b32_e32 v10, 0x80000000, v1
.LBB23_35:
	s_or_b64 exec, exec, s[0:1]
	v_or_b32_e32 v1, 0x1100, v0
	v_cmp_gt_u32_e64 s[8:9], s33, v1
                                        ; implicit-def: $vgpr9
	s_and_saveexec_b64 s[0:1], s[8:9]
	s_cbranch_execz .LBB23_37
; %bb.36:
	v_add_co_u32_e32 v8, vcc, 0x4000, v6
	s_nop 1
	v_addc_co_u32_e32 v9, vcc, 0, v7, vcc
	global_load_dword v1, v[8:9], off offset:1024
	s_waitcnt vmcnt(0)
	v_xor_b32_e32 v9, 0x80000000, v1
.LBB23_37:
	s_or_b64 exec, exec, s[0:1]
	v_or_b32_e32 v1, 0x1200, v0
	v_cmp_gt_u32_e64 s[6:7], s33, v1
                                        ; implicit-def: $vgpr8
	s_and_saveexec_b64 s[0:1], s[6:7]
	s_cbranch_execz .LBB23_39
; %bb.38:
	v_add_co_u32_e32 v28, vcc, 0x4000, v6
	s_nop 1
	v_addc_co_u32_e32 v29, vcc, 0, v7, vcc
	global_load_dword v1, v[28:29], off offset:2048
	s_waitcnt vmcnt(0)
	v_xor_b32_e32 v8, 0x80000000, v1
.LBB23_39:
	s_or_b64 exec, exec, s[0:1]
	v_or_b32_e32 v1, 0x1300, v0
	v_cmp_gt_u32_e64 s[4:5], s33, v1
                                        ; implicit-def: $vgpr5
	s_and_saveexec_b64 s[0:1], s[4:5]
	s_cbranch_execz .LBB23_41
; %bb.40:
	v_add_co_u32_e32 v28, vcc, 0x4000, v6
	s_nop 1
	v_addc_co_u32_e32 v29, vcc, 0, v7, vcc
	global_load_dword v1, v[28:29], off offset:3072
	s_waitcnt vmcnt(0)
	v_xor_b32_e32 v5, 0x80000000, v1
.LBB23_41:
	s_or_b64 exec, exec, s[0:1]
	v_or_b32_e32 v1, 0x1400, v0
	v_cmp_gt_u32_e64 s[2:3], s33, v1
                                        ; implicit-def: $vgpr3
	s_and_saveexec_b64 s[0:1], s[2:3]
	s_cbranch_execz .LBB23_43
; %bb.42:
	v_add_co_u32_e32 v28, vcc, 0x5000, v6
	s_nop 1
	v_addc_co_u32_e32 v29, vcc, 0, v7, vcc
	global_load_dword v1, v[28:29], off
	s_waitcnt vmcnt(0)
	v_xor_b32_e32 v3, 0x80000000, v1
.LBB23_43:
	s_or_b64 exec, exec, s[0:1]
	v_or_b32_e32 v1, 0x1500, v0
	v_cmp_gt_u32_e64 s[0:1], s33, v1
                                        ; implicit-def: $vgpr1
	s_and_saveexec_b64 s[48:49], s[0:1]
	s_cbranch_execz .LBB23_45
; %bb.44:
	v_add_co_u32_e32 v6, vcc, 0x5000, v6
	s_nop 1
	v_addc_co_u32_e32 v7, vcc, 0, v7, vcc
	global_load_dword v1, v[6:7], off offset:1024
	s_waitcnt vmcnt(0)
	v_xor_b32_e32 v1, 0x80000000, v1
.LBB23_45:
	s_or_b64 exec, exec, s[48:49]
	v_or_b32_e32 v6, 0xffffff00, v0
	s_mov_b64 s[48:49], 0
	v_mov_b32_e32 v7, 0
	s_movk_i32 s33, 0xeff
.LBB23_46:                              ; =>This Inner Loop Header: Depth=1
	v_add_u32_e32 v6, 0x100, v6
	v_cmp_lt_u32_e32 vcc, s33, v6
	ds_write_b32 v4, v7
	s_or_b64 s[48:49], vcc, s[48:49]
	v_add_u32_e32 v4, 0x400, v4
	s_andn2_b64 exec, exec, s[48:49]
	s_cbranch_execnz .LBB23_46
; %bb.47:
	s_or_b64 exec, exec, s[48:49]
	s_cmp_gt_u32 s53, s52
	s_cselect_b64 s[48:49], -1, 0
	s_cmp_le_u32 s53, s52
	s_waitcnt lgkmcnt(0)
	s_barrier
	s_cbranch_scc1 .LBB23_136
; %bb.48:
	v_and_b32_e32 v4, 3, v0
	v_lshlrev_b32_e32 v4, 2, v4
	s_sub_i32 s33, s53, s52
	v_mov_b32_e32 v6, 1
	s_mov_b32 s56, s33
	v_mov_b32_e32 v7, v4
	s_mov_b32 s57, s52
	s_branch .LBB23_50
.LBB23_49:                              ;   in Loop: Header=BB23_50 Depth=1
	s_or_b64 exec, exec, s[50:51]
	s_add_i32 s57, s57, 8
	s_add_i32 s56, s56, -8
	s_cmp_lt_u32 s57, s53
	v_add_u32_e32 v7, 0x1000, v7
	s_cbranch_scc0 .LBB23_52
.LBB23_50:                              ; =>This Inner Loop Header: Depth=1
	s_and_saveexec_b64 s[50:51], s[44:45]
	s_cbranch_execz .LBB23_49
; %bb.51:                               ;   in Loop: Header=BB23_50 Depth=1
	s_min_u32 s58, s56, 8
	v_lshrrev_b32_e32 v27, s57, v26
	v_bfe_u32 v27, v27, 0, s58
	v_lshl_add_u32 v27, v27, 4, v7
	ds_add_u32 v27, v6
	s_branch .LBB23_49
.LBB23_52:
	v_mov_b32_e32 v6, 1
	s_mov_b32 s50, s33
	v_mov_b32_e32 v7, v4
	s_mov_b32 s51, s52
	s_branch .LBB23_54
.LBB23_53:                              ;   in Loop: Header=BB23_54 Depth=1
	s_or_b64 exec, exec, s[44:45]
	s_add_i32 s51, s51, 8
	s_add_i32 s50, s50, -8
	s_cmp_lt_u32 s51, s53
	v_add_u32_e32 v7, 0x1000, v7
	s_cbranch_scc0 .LBB23_56
.LBB23_54:                              ; =>This Inner Loop Header: Depth=1
	s_and_saveexec_b64 s[44:45], s[42:43]
	s_cbranch_execz .LBB23_53
; %bb.55:                               ;   in Loop: Header=BB23_54 Depth=1
	s_min_u32 s56, s50, 8
	v_lshrrev_b32_e32 v26, s51, v25
	v_bfe_u32 v26, v26, 0, s56
	v_lshl_add_u32 v26, v26, 4, v7
	ds_add_u32 v26, v6
	s_branch .LBB23_53
.LBB23_56:
	;; [unrolled: 23-line block ×13, first 2 shown]
	v_mov_b32_e32 v6, 1
	s_mov_b32 s20, s33
	v_mov_b32_e32 v7, v4
	s_mov_b32 s21, s52
	s_branch .LBB23_102
.LBB23_101:                             ;   in Loop: Header=BB23_102 Depth=1
	s_or_b64 exec, exec, s[18:19]
	s_add_i32 s21, s21, 8
	s_add_i32 s20, s20, -8
	s_cmp_lt_u32 s21, s53
	v_add_u32_e32 v7, 0x1000, v7
	s_cbranch_scc0 .LBB23_104
.LBB23_102:                             ; =>This Inner Loop Header: Depth=1
	s_and_saveexec_b64 s[18:19], s[16:17]
	s_cbranch_execz .LBB23_101
; %bb.103:                              ;   in Loop: Header=BB23_102 Depth=1
	s_min_u32 s22, s20, 8
	v_lshrrev_b32_e32 v14, s21, v13
	v_bfe_u32 v14, v14, 0, s22
	v_lshl_add_u32 v14, v14, 4, v7
	ds_add_u32 v14, v6
	s_branch .LBB23_101
.LBB23_104:
	v_mov_b32_e32 v6, 1
	s_mov_b32 s18, s33
	v_mov_b32_e32 v7, v4
	s_mov_b32 s19, s52
	s_branch .LBB23_106
.LBB23_105:                             ;   in Loop: Header=BB23_106 Depth=1
	s_or_b64 exec, exec, s[16:17]
	s_add_i32 s19, s19, 8
	s_add_i32 s18, s18, -8
	s_cmp_lt_u32 s19, s53
	v_add_u32_e32 v7, 0x1000, v7
	s_cbranch_scc0 .LBB23_108
.LBB23_106:                             ; =>This Inner Loop Header: Depth=1
	s_and_saveexec_b64 s[16:17], s[14:15]
	s_cbranch_execz .LBB23_105
; %bb.107:                              ;   in Loop: Header=BB23_106 Depth=1
	s_min_u32 s20, s18, 8
	v_lshrrev_b32_e32 v13, s19, v12
	v_bfe_u32 v13, v13, 0, s20
	v_lshl_add_u32 v13, v13, 4, v7
	ds_add_u32 v13, v6
	s_branch .LBB23_105
.LBB23_108:
	;; [unrolled: 23-line block ×8, first 2 shown]
	v_mov_b32_e32 v3, 1
	s_mov_b32 s4, s52
	s_branch .LBB23_134
.LBB23_133:                             ;   in Loop: Header=BB23_134 Depth=1
	s_or_b64 exec, exec, s[2:3]
	s_add_i32 s4, s4, 8
	s_add_i32 s33, s33, -8
	s_cmp_lt_u32 s4, s53
	v_add_u32_e32 v4, 0x1000, v4
	s_cbranch_scc0 .LBB23_136
.LBB23_134:                             ; =>This Inner Loop Header: Depth=1
	s_and_saveexec_b64 s[2:3], s[0:1]
	s_cbranch_execz .LBB23_133
; %bb.135:                              ;   in Loop: Header=BB23_134 Depth=1
	s_min_u32 s5, s33, 8
	v_lshrrev_b32_e32 v5, s4, v1
	v_bfe_u32 v5, v5, 0, s5
	v_lshl_add_u32 v5, v5, 4, v4
	ds_add_u32 v5, v3
	s_branch .LBB23_133
.LBB23_136:
	s_and_b64 vcc, exec, s[48:49]
	s_waitcnt lgkmcnt(0)
	s_barrier
	s_cbranch_vccz .LBB23_141
; %bb.137:
	s_movk_i32 s0, 0x100
	v_cmp_gt_u32_e32 vcc, s0, v0
	v_lshlrev_b32_e32 v1, 4, v0
	v_mov_b32_e32 v5, 0
	v_mov_b32_e32 v4, v0
	s_mov_b32 s2, s52
	s_branch .LBB23_139
.LBB23_138:                             ;   in Loop: Header=BB23_139 Depth=1
	s_or_b64 exec, exec, s[0:1]
	s_add_i32 s2, s2, 8
	v_add_u32_e32 v4, 0x100, v4
	s_cmp_lt_u32 s2, s53
	v_add_u32_e32 v1, 0x1000, v1
	s_cbranch_scc0 .LBB23_141
.LBB23_139:                             ; =>This Inner Loop Header: Depth=1
	s_and_saveexec_b64 s[0:1], vcc
	s_cbranch_execz .LBB23_138
; %bb.140:                              ;   in Loop: Header=BB23_139 Depth=1
	ds_read2_b32 v[6:7], v1 offset1:1
	ds_read2_b32 v[8:9], v1 offset0:2 offset1:3
	v_lshl_add_u64 v[10:11], v[4:5], 3, s[46:47]
	s_waitcnt lgkmcnt(1)
	v_add_u32_e32 v3, v7, v6
	s_waitcnt lgkmcnt(0)
	v_add3_u32 v6, v3, v8, v9
	v_mov_b32_e32 v7, v5
	global_atomic_add_x2 v[10:11], v[6:7], off
	s_branch .LBB23_138
.LBB23_141:
	s_mov_b64 s[0:1], 0
.LBB23_142:
	s_and_b64 vcc, exec, s[0:1]
	s_cbranch_vccz .LBB23_202
; %bb.143:
	v_mov_b32_e32 v3, 0
	v_lshl_add_u64 v[22:23], s[54:55], 0, v[2:3]
	v_add_co_u32_e32 v4, vcc, 0x1000, v22
	s_cmp_eq_u32 s52, 0
	s_nop 0
	v_addc_co_u32_e32 v5, vcc, 0, v23, vcc
	v_add_co_u32_e32 v6, vcc, 0x2000, v22
	s_cselect_b64 s[0:1], -1, 0
	s_nop 0
	v_addc_co_u32_e32 v7, vcc, 0, v23, vcc
	v_add_co_u32_e32 v24, vcc, 0x3000, v22
	global_load_dword v20, v[4:5], off
	global_load_dword v19, v[4:5], off offset:1024
	global_load_dword v18, v[4:5], off offset:2048
	;; [unrolled: 1-line block ×3, first 2 shown]
	global_load_dword v16, v[6:7], off
	global_load_dword v15, v[6:7], off offset:1024
	global_load_dword v14, v[6:7], off offset:2048
	;; [unrolled: 1-line block ×3, first 2 shown]
	v_addc_co_u32_e32 v25, vcc, 0, v23, vcc
	v_add_co_u32_e32 v26, vcc, 0x4000, v22
	s_cmp_eq_u32 s53, 32
	s_nop 0
	v_addc_co_u32_e32 v27, vcc, 0, v23, vcc
	global_load_dword v13, v[24:25], off
	global_load_dword v11, v[24:25], off offset:1024
	global_load_dword v10, v[24:25], off offset:2048
	;; [unrolled: 1-line block ×3, first 2 shown]
	global_load_dword v8, v[26:27], off
	global_load_dword v7, v[26:27], off offset:1024
	global_load_dword v6, v[26:27], off offset:2048
	;; [unrolled: 1-line block ×3, first 2 shown]
	v_add_co_u32_e32 v26, vcc, 0x5000, v22
	s_cselect_b64 s[2:3], -1, 0
	s_nop 0
	v_addc_co_u32_e32 v27, vcc, 0, v23, vcc
	global_load_dword v24, v2, s[54:55]
	global_load_dword v23, v2, s[54:55] offset:1024
	global_load_dword v22, v2, s[54:55] offset:2048
	;; [unrolled: 1-line block ×3, first 2 shown]
	global_load_dword v4, v[26:27], off
	global_load_dword v1, v[26:27], off offset:1024
	s_and_b64 s[2:3], s[0:1], s[2:3]
	s_mov_b64 s[0:1], -1
	s_and_b64 vcc, exec, s[2:3]
	s_cbranch_vccnz .LBB23_197
; %bb.144:
	v_or_b32_e32 v25, 0xffffff00, v0
	s_mov_b64 s[0:1], 0
	s_movk_i32 s2, 0xeff
.LBB23_145:                             ; =>This Inner Loop Header: Depth=1
	v_add_u32_e32 v25, 0x100, v25
	v_cmp_lt_u32_e32 vcc, s2, v25
	ds_write_b32 v2, v3
	s_or_b64 s[0:1], vcc, s[0:1]
	v_add_u32_e32 v2, 0x400, v2
	s_andn2_b64 exec, exec, s[0:1]
	s_cbranch_execnz .LBB23_145
; %bb.146:
	s_or_b64 exec, exec, s[0:1]
	s_cmp_gt_u32 s53, s52
	s_cselect_b64 s[0:1], -1, 0
	s_cmp_le_u32 s53, s52
	s_waitcnt lgkmcnt(0)
	s_barrier
	s_cbranch_scc1 .LBB23_191
; %bb.147:
	v_and_b32_e32 v2, 3, v0
	v_lshlrev_b32_e32 v2, 2, v2
	s_sub_i32 s2, s53, s52
	s_waitcnt vmcnt(5)
	v_xor_b32_e32 v3, 0x80000000, v24
	v_mov_b32_e32 v25, 1
	s_mov_b32 s3, s2
	v_mov_b32_e32 v26, v2
	s_mov_b32 s4, s52
.LBB23_148:                             ; =>This Inner Loop Header: Depth=1
	s_min_u32 s5, s3, 8
	v_lshrrev_b32_e32 v27, s4, v3
	v_bfe_u32 v27, v27, 0, s5
	v_lshl_add_u32 v27, v27, 4, v26
	ds_add_u32 v27, v25
	s_add_i32 s4, s4, 8
	s_add_i32 s3, s3, -8
	s_cmp_lt_u32 s4, s53
	v_add_u32_e32 v26, 0x1000, v26
	s_cbranch_scc1 .LBB23_148
; %bb.149:
	s_waitcnt vmcnt(4)
	v_xor_b32_e32 v3, 0x80000000, v23
	v_mov_b32_e32 v25, 1
	s_mov_b32 s3, s2
	v_mov_b32_e32 v26, v2
	s_mov_b32 s4, s52
.LBB23_150:                             ; =>This Inner Loop Header: Depth=1
	s_min_u32 s5, s3, 8
	v_lshrrev_b32_e32 v27, s4, v3
	v_bfe_u32 v27, v27, 0, s5
	v_lshl_add_u32 v27, v27, 4, v26
	ds_add_u32 v27, v25
	s_add_i32 s4, s4, 8
	s_add_i32 s3, s3, -8
	s_cmp_lt_u32 s4, s53
	v_add_u32_e32 v26, 0x1000, v26
	s_cbranch_scc1 .LBB23_150
; %bb.151:
	;; [unrolled: 18-line block ×4, first 2 shown]
	v_xor_b32_e32 v3, 0x80000000, v20
	v_mov_b32_e32 v25, 1
	s_mov_b32 s3, s2
	v_mov_b32_e32 v26, v2
	s_mov_b32 s4, s52
.LBB23_156:                             ; =>This Inner Loop Header: Depth=1
	s_min_u32 s5, s3, 8
	v_lshrrev_b32_e32 v27, s4, v3
	v_bfe_u32 v27, v27, 0, s5
	v_lshl_add_u32 v27, v27, 4, v26
	ds_add_u32 v27, v25
	s_add_i32 s4, s4, 8
	s_add_i32 s3, s3, -8
	s_cmp_lt_u32 s4, s53
	v_add_u32_e32 v26, 0x1000, v26
	s_cbranch_scc1 .LBB23_156
; %bb.157:
	v_xor_b32_e32 v3, 0x80000000, v19
	v_mov_b32_e32 v25, 1
	s_mov_b32 s3, s2
	v_mov_b32_e32 v26, v2
	s_mov_b32 s4, s52
.LBB23_158:                             ; =>This Inner Loop Header: Depth=1
	s_min_u32 s5, s3, 8
	v_lshrrev_b32_e32 v27, s4, v3
	v_bfe_u32 v27, v27, 0, s5
	v_lshl_add_u32 v27, v27, 4, v26
	ds_add_u32 v27, v25
	s_add_i32 s4, s4, 8
	s_add_i32 s3, s3, -8
	s_cmp_lt_u32 s4, s53
	v_add_u32_e32 v26, 0x1000, v26
	s_cbranch_scc1 .LBB23_158
; %bb.159:
	;; [unrolled: 17-line block ×16, first 2 shown]
	s_waitcnt vmcnt(1)
	v_xor_b32_e32 v3, 0x80000000, v4
	v_mov_b32_e32 v25, 1
	s_mov_b32 s3, s2
	v_mov_b32_e32 v26, v2
	s_mov_b32 s4, s52
.LBB23_188:                             ; =>This Inner Loop Header: Depth=1
	s_min_u32 s5, s3, 8
	v_lshrrev_b32_e32 v27, s4, v3
	v_bfe_u32 v27, v27, 0, s5
	v_lshl_add_u32 v27, v27, 4, v26
	ds_add_u32 v27, v25
	s_add_i32 s4, s4, 8
	s_add_i32 s3, s3, -8
	s_cmp_lt_u32 s4, s53
	v_add_u32_e32 v26, 0x1000, v26
	s_cbranch_scc1 .LBB23_188
; %bb.189:
	s_waitcnt vmcnt(0)
	v_xor_b32_e32 v3, 0x80000000, v1
	v_mov_b32_e32 v25, 1
	s_mov_b32 s3, s52
.LBB23_190:                             ; =>This Inner Loop Header: Depth=1
	s_min_u32 s4, s2, 8
	v_lshrrev_b32_e32 v26, s3, v3
	v_bfe_u32 v26, v26, 0, s4
	v_lshl_add_u32 v26, v26, 4, v2
	ds_add_u32 v26, v25
	s_add_i32 s3, s3, 8
	s_add_i32 s2, s2, -8
	s_cmp_lt_u32 s3, s53
	v_add_u32_e32 v2, 0x1000, v2
	s_cbranch_scc1 .LBB23_190
.LBB23_191:
	s_and_b64 vcc, exec, s[0:1]
	s_waitcnt lgkmcnt(0)
	s_barrier
	s_cbranch_vccz .LBB23_196
; %bb.192:
	s_movk_i32 s0, 0x100
	v_cmp_gt_u32_e32 vcc, s0, v0
	v_lshlrev_b32_e32 v25, 4, v0
	v_mov_b32_e32 v3, 0
	v_mov_b32_e32 v2, v0
	s_branch .LBB23_194
.LBB23_193:                             ;   in Loop: Header=BB23_194 Depth=1
	s_or_b64 exec, exec, s[0:1]
	s_add_i32 s52, s52, 8
	v_add_u32_e32 v2, 0x100, v2
	s_cmp_ge_u32 s52, s53
	v_add_u32_e32 v25, 0x1000, v25
	s_cbranch_scc1 .LBB23_196
.LBB23_194:                             ; =>This Inner Loop Header: Depth=1
	s_and_saveexec_b64 s[0:1], vcc
	s_cbranch_execz .LBB23_193
; %bb.195:                              ;   in Loop: Header=BB23_194 Depth=1
	ds_read2_b32 v[26:27], v25 offset1:1
	ds_read2_b32 v[28:29], v25 offset0:2 offset1:3
	v_lshl_add_u64 v[30:31], v[2:3], 3, s[46:47]
	s_waitcnt lgkmcnt(1)
	v_add_u32_e32 v26, v27, v26
	s_waitcnt lgkmcnt(0)
	v_add3_u32 v26, v26, v28, v29
	v_mov_b32_e32 v27, v3
	global_atomic_add_x2 v[30:31], v[26:27], off
	s_branch .LBB23_193
.LBB23_196:
	s_mov_b64 s[0:1], 0
.LBB23_197:
	s_and_b64 vcc, exec, s[0:1]
	s_cbranch_vccz .LBB23_202
; %bb.198:
	v_or_b32_e32 v2, 0xffffff00, v0
	v_lshlrev_b32_e32 v3, 2, v0
	s_mov_b64 s[0:1], 0
	v_mov_b32_e32 v25, 0
	s_movk_i32 s2, 0xeff
.LBB23_199:                             ; =>This Inner Loop Header: Depth=1
	v_add_u32_e32 v2, 0x100, v2
	v_cmp_lt_u32_e32 vcc, s2, v2
	ds_write_b32 v3, v25
	s_or_b64 s[0:1], vcc, s[0:1]
	v_add_u32_e32 v3, 0x400, v3
	s_andn2_b64 exec, exec, s[0:1]
	s_cbranch_execnz .LBB23_199
; %bb.200:
	s_or_b64 exec, exec, s[0:1]
	v_and_b32_e32 v2, 3, v0
	s_waitcnt vmcnt(5)
	v_lshlrev_b32_e32 v3, 4, v24
	v_lshlrev_b32_e32 v2, 2, v2
	s_movk_i32 s0, 0xff0
	v_and_or_b32 v3, v3, s0, v2
	v_mov_b32_e32 v25, 1
	s_waitcnt lgkmcnt(0)
	s_barrier
	ds_add_u32 v3, v25
	v_bfe_u32 v3, v24, 8, 8
	v_lshl_or_b32 v3, v3, 4, v2
	ds_add_u32 v3, v25 offset:4096
	v_bfe_u32 v3, v24, 16, 8
	v_lshl_or_b32 v3, v3, 4, v2
	ds_add_u32 v3, v25 offset:8192
	v_mov_b32_e32 v3, 2
	v_lshlrev_b32_sdwa v24, v3, v24 dst_sel:DWORD dst_unused:UNUSED_PAD src0_sel:DWORD src1_sel:BYTE_3
	v_xor_b32_e32 v24, 0x200, v24
	v_lshl_or_b32 v24, v24, 2, v2
	ds_add_u32 v24, v25 offset:12288
	s_waitcnt vmcnt(4)
	v_lshlrev_b32_e32 v24, 4, v23
	v_and_or_b32 v24, v24, s0, v2
	ds_add_u32 v24, v25
	v_bfe_u32 v24, v23, 8, 8
	v_lshl_or_b32 v24, v24, 4, v2
	ds_add_u32 v24, v25 offset:4096
	v_bfe_u32 v24, v23, 16, 8
	v_lshlrev_b32_sdwa v23, v3, v23 dst_sel:DWORD dst_unused:UNUSED_PAD src0_sel:DWORD src1_sel:BYTE_3
	v_lshl_or_b32 v24, v24, 4, v2
	v_xor_b32_e32 v23, 0x200, v23
	ds_add_u32 v24, v25 offset:8192
	v_lshl_or_b32 v23, v23, 2, v2
	ds_add_u32 v23, v25 offset:12288
	s_waitcnt vmcnt(3)
	v_lshlrev_b32_e32 v23, 4, v22
	v_and_or_b32 v23, v23, s0, v2
	ds_add_u32 v23, v25
	v_bfe_u32 v23, v22, 8, 8
	v_lshl_or_b32 v23, v23, 4, v2
	ds_add_u32 v23, v25 offset:4096
	v_bfe_u32 v23, v22, 16, 8
	v_lshlrev_b32_sdwa v22, v3, v22 dst_sel:DWORD dst_unused:UNUSED_PAD src0_sel:DWORD src1_sel:BYTE_3
	v_lshl_or_b32 v23, v23, 4, v2
	v_xor_b32_e32 v22, 0x200, v22
	ds_add_u32 v23, v25 offset:8192
	;; [unrolled: 14-line block ×3, first 2 shown]
	v_lshl_or_b32 v21, v21, 2, v2
	ds_add_u32 v21, v25 offset:12288
	v_lshlrev_b32_e32 v21, 4, v20
	v_and_or_b32 v21, v21, s0, v2
	ds_add_u32 v21, v25
	v_bfe_u32 v21, v20, 8, 8
	v_lshl_or_b32 v21, v21, 4, v2
	ds_add_u32 v21, v25 offset:4096
	v_bfe_u32 v21, v20, 16, 8
	v_lshlrev_b32_sdwa v20, v3, v20 dst_sel:DWORD dst_unused:UNUSED_PAD src0_sel:DWORD src1_sel:BYTE_3
	v_lshl_or_b32 v21, v21, 4, v2
	v_xor_b32_e32 v20, 0x200, v20
	ds_add_u32 v21, v25 offset:8192
	v_lshl_or_b32 v20, v20, 2, v2
	ds_add_u32 v20, v25 offset:12288
	v_lshlrev_b32_e32 v20, 4, v19
	v_and_or_b32 v20, v20, s0, v2
	ds_add_u32 v20, v25
	v_bfe_u32 v20, v19, 8, 8
	v_lshl_or_b32 v20, v20, 4, v2
	ds_add_u32 v20, v25 offset:4096
	v_bfe_u32 v20, v19, 16, 8
	v_lshlrev_b32_sdwa v19, v3, v19 dst_sel:DWORD dst_unused:UNUSED_PAD src0_sel:DWORD src1_sel:BYTE_3
	v_lshl_or_b32 v20, v20, 4, v2
	v_xor_b32_e32 v19, 0x200, v19
	ds_add_u32 v20, v25 offset:8192
	;; [unrolled: 13-line block ×8, first 2 shown]
	v_lshl_or_b32 v12, v12, 2, v2
	ds_add_u32 v12, v25 offset:12288
	v_lshlrev_b32_e32 v12, 4, v13
	v_and_or_b32 v12, v12, s0, v2
	ds_add_u32 v12, v25
	v_bfe_u32 v12, v13, 8, 8
	v_lshl_or_b32 v12, v12, 4, v2
	ds_add_u32 v12, v25 offset:4096
	v_bfe_u32 v12, v13, 16, 8
	v_lshl_or_b32 v12, v12, 4, v2
	ds_add_u32 v12, v25 offset:8192
	v_lshlrev_b32_sdwa v12, v3, v13 dst_sel:DWORD dst_unused:UNUSED_PAD src0_sel:DWORD src1_sel:BYTE_3
	v_xor_b32_e32 v12, 0x200, v12
	v_lshl_or_b32 v12, v12, 2, v2
	ds_add_u32 v12, v25 offset:12288
	v_lshlrev_b32_e32 v12, 4, v11
	v_and_or_b32 v12, v12, s0, v2
	ds_add_u32 v12, v25
	v_bfe_u32 v12, v11, 8, 8
	v_lshl_or_b32 v12, v12, 4, v2
	ds_add_u32 v12, v25 offset:4096
	v_bfe_u32 v12, v11, 16, 8
	v_lshlrev_b32_sdwa v11, v3, v11 dst_sel:DWORD dst_unused:UNUSED_PAD src0_sel:DWORD src1_sel:BYTE_3
	v_lshl_or_b32 v12, v12, 4, v2
	v_xor_b32_e32 v11, 0x200, v11
	ds_add_u32 v12, v25 offset:8192
	v_lshl_or_b32 v11, v11, 2, v2
	ds_add_u32 v11, v25 offset:12288
	v_lshlrev_b32_e32 v11, 4, v10
	v_and_or_b32 v11, v11, s0, v2
	ds_add_u32 v11, v25
	v_bfe_u32 v11, v10, 8, 8
	v_lshl_or_b32 v11, v11, 4, v2
	ds_add_u32 v11, v25 offset:4096
	v_bfe_u32 v11, v10, 16, 8
	v_lshlrev_b32_sdwa v10, v3, v10 dst_sel:DWORD dst_unused:UNUSED_PAD src0_sel:DWORD src1_sel:BYTE_3
	v_lshl_or_b32 v11, v11, 4, v2
	v_xor_b32_e32 v10, 0x200, v10
	ds_add_u32 v11, v25 offset:8192
	;; [unrolled: 13-line block ×7, first 2 shown]
	v_lshl_or_b32 v5, v5, 2, v2
	ds_add_u32 v5, v25 offset:12288
	s_waitcnt vmcnt(1)
	v_lshlrev_b32_e32 v5, 4, v4
	v_and_or_b32 v5, v5, s0, v2
	ds_add_u32 v5, v25
	v_bfe_u32 v5, v4, 8, 8
	v_lshl_or_b32 v5, v5, 4, v2
	ds_add_u32 v5, v25 offset:4096
	v_bfe_u32 v5, v4, 16, 8
	v_lshlrev_b32_sdwa v4, v3, v4 dst_sel:DWORD dst_unused:UNUSED_PAD src0_sel:DWORD src1_sel:BYTE_3
	v_lshl_or_b32 v5, v5, 4, v2
	v_xor_b32_e32 v4, 0x200, v4
	ds_add_u32 v5, v25 offset:8192
	v_lshl_or_b32 v4, v4, 2, v2
	ds_add_u32 v4, v25 offset:12288
	s_waitcnt vmcnt(0)
	v_lshlrev_b32_e32 v4, 4, v1
	v_and_or_b32 v4, v4, s0, v2
	ds_add_u32 v4, v25
	v_bfe_u32 v4, v1, 8, 8
	v_lshl_or_b32 v4, v4, 4, v2
	ds_add_u32 v4, v25 offset:4096
	v_bfe_u32 v4, v1, 16, 8
	v_lshlrev_b32_sdwa v1, v3, v1 dst_sel:DWORD dst_unused:UNUSED_PAD src0_sel:DWORD src1_sel:BYTE_3
	v_lshl_or_b32 v4, v4, 4, v2
	v_xor_b32_e32 v1, 0x200, v1
	ds_add_u32 v4, v25 offset:8192
	v_lshl_or_b32 v1, v1, 2, v2
	ds_add_u32 v1, v25 offset:12288
	s_movk_i32 s0, 0x100
	v_cmp_gt_u32_e32 vcc, s0, v0
	s_waitcnt lgkmcnt(0)
	s_barrier
	s_and_saveexec_b64 s[0:1], vcc
	s_cbranch_execz .LBB23_202
; %bb.201:
	v_lshlrev_b32_e32 v8, 4, v0
	ds_read2_b32 v[2:3], v8 offset1:1
	ds_read2_b32 v[4:5], v8 offset0:2 offset1:3
	v_mov_b32_e32 v1, 0
	v_lshlrev_b32_e32 v0, 3, v0
	v_mov_b32_e32 v7, v1
	s_waitcnt lgkmcnt(1)
	v_add_u32_e32 v2, v3, v2
	s_waitcnt lgkmcnt(0)
	v_add3_u32 v6, v2, v4, v5
	global_atomic_add_x2 v0, v[6:7], s[46:47]
	v_or_b32_e32 v2, 0x1000, v8
	v_or_b32_e32 v4, 0x1008, v8
	ds_read2_b32 v[2:3], v2 offset1:1
	ds_read2_b32 v[4:5], v4 offset1:1
	s_movk_i32 s0, 0x1000
	s_waitcnt lgkmcnt(1)
	v_add_u32_e32 v2, v3, v2
	s_waitcnt lgkmcnt(0)
	v_add3_u32 v6, v2, v4, v5
	global_atomic_add_x2 v0, v[6:7], s[46:47] offset:2048
	v_or_b32_e32 v2, 0x2000, v8
	v_or_b32_e32 v4, 0x2008, v8
	ds_read2_b32 v[2:3], v2 offset1:1
	ds_read2_b32 v[4:5], v4 offset1:1
	v_lshl_add_u64 v[6:7], s[46:47], 0, v[0:1]
	s_waitcnt lgkmcnt(1)
	v_add_u32_e32 v0, v3, v2
	v_add_co_u32_e32 v2, vcc, s0, v6
	s_waitcnt lgkmcnt(0)
	v_add3_u32 v0, v0, v4, v5
	v_addc_co_u32_e32 v3, vcc, 0, v7, vcc
	global_atomic_add_x2 v[2:3], v[0:1], off
	v_or_b32_e32 v0, 0x3000, v8
	v_or_b32_e32 v6, 0x3008, v8
	ds_read2_b32 v[4:5], v0 offset1:1
	ds_read2_b32 v[6:7], v6 offset1:1
	s_waitcnt lgkmcnt(1)
	v_add_u32_e32 v0, v5, v4
	s_waitcnt lgkmcnt(0)
	v_add3_u32 v0, v0, v6, v7
	global_atomic_add_x2 v[2:3], v[0:1], off offset:2048
.LBB23_202:
	s_endpgm
	.section	.rodata,"a",@progbits
	.p2align	6, 0x0
	.amdhsa_kernel _ZN7rocprim17ROCPRIM_304000_NS6detail26onesweep_histograms_kernelINS1_34wrapped_radix_sort_onesweep_configINS0_14default_configEiN2at4cuda3cub6detail10OpaqueTypeILi1EEEEELb0EPKimNS0_19identity_decomposerEEEvT1_PT2_SG_SG_T3_jj
		.amdhsa_group_segment_fixed_size 16384
		.amdhsa_private_segment_fixed_size 0
		.amdhsa_kernarg_size 44
		.amdhsa_user_sgpr_count 2
		.amdhsa_user_sgpr_dispatch_ptr 0
		.amdhsa_user_sgpr_queue_ptr 0
		.amdhsa_user_sgpr_kernarg_segment_ptr 1
		.amdhsa_user_sgpr_dispatch_id 0
		.amdhsa_user_sgpr_kernarg_preload_length 0
		.amdhsa_user_sgpr_kernarg_preload_offset 0
		.amdhsa_user_sgpr_private_segment_size 0
		.amdhsa_uses_dynamic_stack 0
		.amdhsa_enable_private_segment 0
		.amdhsa_system_sgpr_workgroup_id_x 1
		.amdhsa_system_sgpr_workgroup_id_y 0
		.amdhsa_system_sgpr_workgroup_id_z 0
		.amdhsa_system_sgpr_workgroup_info 0
		.amdhsa_system_vgpr_workitem_id 0
		.amdhsa_next_free_vgpr 32
		.amdhsa_next_free_sgpr 59
		.amdhsa_accum_offset 32
		.amdhsa_reserve_vcc 1
		.amdhsa_float_round_mode_32 0
		.amdhsa_float_round_mode_16_64 0
		.amdhsa_float_denorm_mode_32 3
		.amdhsa_float_denorm_mode_16_64 3
		.amdhsa_dx10_clamp 1
		.amdhsa_ieee_mode 1
		.amdhsa_fp16_overflow 0
		.amdhsa_tg_split 0
		.amdhsa_exception_fp_ieee_invalid_op 0
		.amdhsa_exception_fp_denorm_src 0
		.amdhsa_exception_fp_ieee_div_zero 0
		.amdhsa_exception_fp_ieee_overflow 0
		.amdhsa_exception_fp_ieee_underflow 0
		.amdhsa_exception_fp_ieee_inexact 0
		.amdhsa_exception_int_div_zero 0
	.end_amdhsa_kernel
	.section	.text._ZN7rocprim17ROCPRIM_304000_NS6detail26onesweep_histograms_kernelINS1_34wrapped_radix_sort_onesweep_configINS0_14default_configEiN2at4cuda3cub6detail10OpaqueTypeILi1EEEEELb0EPKimNS0_19identity_decomposerEEEvT1_PT2_SG_SG_T3_jj,"axG",@progbits,_ZN7rocprim17ROCPRIM_304000_NS6detail26onesweep_histograms_kernelINS1_34wrapped_radix_sort_onesweep_configINS0_14default_configEiN2at4cuda3cub6detail10OpaqueTypeILi1EEEEELb0EPKimNS0_19identity_decomposerEEEvT1_PT2_SG_SG_T3_jj,comdat
.Lfunc_end23:
	.size	_ZN7rocprim17ROCPRIM_304000_NS6detail26onesweep_histograms_kernelINS1_34wrapped_radix_sort_onesweep_configINS0_14default_configEiN2at4cuda3cub6detail10OpaqueTypeILi1EEEEELb0EPKimNS0_19identity_decomposerEEEvT1_PT2_SG_SG_T3_jj, .Lfunc_end23-_ZN7rocprim17ROCPRIM_304000_NS6detail26onesweep_histograms_kernelINS1_34wrapped_radix_sort_onesweep_configINS0_14default_configEiN2at4cuda3cub6detail10OpaqueTypeILi1EEEEELb0EPKimNS0_19identity_decomposerEEEvT1_PT2_SG_SG_T3_jj
                                        ; -- End function
	.set _ZN7rocprim17ROCPRIM_304000_NS6detail26onesweep_histograms_kernelINS1_34wrapped_radix_sort_onesweep_configINS0_14default_configEiN2at4cuda3cub6detail10OpaqueTypeILi1EEEEELb0EPKimNS0_19identity_decomposerEEEvT1_PT2_SG_SG_T3_jj.num_vgpr, 32
	.set _ZN7rocprim17ROCPRIM_304000_NS6detail26onesweep_histograms_kernelINS1_34wrapped_radix_sort_onesweep_configINS0_14default_configEiN2at4cuda3cub6detail10OpaqueTypeILi1EEEEELb0EPKimNS0_19identity_decomposerEEEvT1_PT2_SG_SG_T3_jj.num_agpr, 0
	.set _ZN7rocprim17ROCPRIM_304000_NS6detail26onesweep_histograms_kernelINS1_34wrapped_radix_sort_onesweep_configINS0_14default_configEiN2at4cuda3cub6detail10OpaqueTypeILi1EEEEELb0EPKimNS0_19identity_decomposerEEEvT1_PT2_SG_SG_T3_jj.numbered_sgpr, 59
	.set _ZN7rocprim17ROCPRIM_304000_NS6detail26onesweep_histograms_kernelINS1_34wrapped_radix_sort_onesweep_configINS0_14default_configEiN2at4cuda3cub6detail10OpaqueTypeILi1EEEEELb0EPKimNS0_19identity_decomposerEEEvT1_PT2_SG_SG_T3_jj.num_named_barrier, 0
	.set _ZN7rocprim17ROCPRIM_304000_NS6detail26onesweep_histograms_kernelINS1_34wrapped_radix_sort_onesweep_configINS0_14default_configEiN2at4cuda3cub6detail10OpaqueTypeILi1EEEEELb0EPKimNS0_19identity_decomposerEEEvT1_PT2_SG_SG_T3_jj.private_seg_size, 0
	.set _ZN7rocprim17ROCPRIM_304000_NS6detail26onesweep_histograms_kernelINS1_34wrapped_radix_sort_onesweep_configINS0_14default_configEiN2at4cuda3cub6detail10OpaqueTypeILi1EEEEELb0EPKimNS0_19identity_decomposerEEEvT1_PT2_SG_SG_T3_jj.uses_vcc, 1
	.set _ZN7rocprim17ROCPRIM_304000_NS6detail26onesweep_histograms_kernelINS1_34wrapped_radix_sort_onesweep_configINS0_14default_configEiN2at4cuda3cub6detail10OpaqueTypeILi1EEEEELb0EPKimNS0_19identity_decomposerEEEvT1_PT2_SG_SG_T3_jj.uses_flat_scratch, 0
	.set _ZN7rocprim17ROCPRIM_304000_NS6detail26onesweep_histograms_kernelINS1_34wrapped_radix_sort_onesweep_configINS0_14default_configEiN2at4cuda3cub6detail10OpaqueTypeILi1EEEEELb0EPKimNS0_19identity_decomposerEEEvT1_PT2_SG_SG_T3_jj.has_dyn_sized_stack, 0
	.set _ZN7rocprim17ROCPRIM_304000_NS6detail26onesweep_histograms_kernelINS1_34wrapped_radix_sort_onesweep_configINS0_14default_configEiN2at4cuda3cub6detail10OpaqueTypeILi1EEEEELb0EPKimNS0_19identity_decomposerEEEvT1_PT2_SG_SG_T3_jj.has_recursion, 0
	.set _ZN7rocprim17ROCPRIM_304000_NS6detail26onesweep_histograms_kernelINS1_34wrapped_radix_sort_onesweep_configINS0_14default_configEiN2at4cuda3cub6detail10OpaqueTypeILi1EEEEELb0EPKimNS0_19identity_decomposerEEEvT1_PT2_SG_SG_T3_jj.has_indirect_call, 0
	.section	.AMDGPU.csdata,"",@progbits
; Kernel info:
; codeLenInByte = 8624
; TotalNumSgprs: 65
; NumVgprs: 32
; NumAgprs: 0
; TotalNumVgprs: 32
; ScratchSize: 0
; MemoryBound: 0
; FloatMode: 240
; IeeeMode: 1
; LDSByteSize: 16384 bytes/workgroup (compile time only)
; SGPRBlocks: 8
; VGPRBlocks: 3
; NumSGPRsForWavesPerEU: 65
; NumVGPRsForWavesPerEU: 32
; AccumOffset: 32
; Occupancy: 8
; WaveLimiterHint : 1
; COMPUTE_PGM_RSRC2:SCRATCH_EN: 0
; COMPUTE_PGM_RSRC2:USER_SGPR: 2
; COMPUTE_PGM_RSRC2:TRAP_HANDLER: 0
; COMPUTE_PGM_RSRC2:TGID_X_EN: 1
; COMPUTE_PGM_RSRC2:TGID_Y_EN: 0
; COMPUTE_PGM_RSRC2:TGID_Z_EN: 0
; COMPUTE_PGM_RSRC2:TIDIG_COMP_CNT: 0
; COMPUTE_PGM_RSRC3_GFX90A:ACCUM_OFFSET: 7
; COMPUTE_PGM_RSRC3_GFX90A:TG_SPLIT: 0
	.section	.text._ZN7rocprim17ROCPRIM_304000_NS6detail25onesweep_iteration_kernelINS1_34wrapped_radix_sort_onesweep_configINS0_14default_configEiN2at4cuda3cub6detail10OpaqueTypeILi1EEEEELb0EPKiPiPKSA_PSA_mNS0_19identity_decomposerEEEvT1_T2_T3_T4_jPT5_SO_PNS1_23onesweep_lookback_stateET6_jjj,"axG",@progbits,_ZN7rocprim17ROCPRIM_304000_NS6detail25onesweep_iteration_kernelINS1_34wrapped_radix_sort_onesweep_configINS0_14default_configEiN2at4cuda3cub6detail10OpaqueTypeILi1EEEEELb0EPKiPiPKSA_PSA_mNS0_19identity_decomposerEEEvT1_T2_T3_T4_jPT5_SO_PNS1_23onesweep_lookback_stateET6_jjj,comdat
	.protected	_ZN7rocprim17ROCPRIM_304000_NS6detail25onesweep_iteration_kernelINS1_34wrapped_radix_sort_onesweep_configINS0_14default_configEiN2at4cuda3cub6detail10OpaqueTypeILi1EEEEELb0EPKiPiPKSA_PSA_mNS0_19identity_decomposerEEEvT1_T2_T3_T4_jPT5_SO_PNS1_23onesweep_lookback_stateET6_jjj ; -- Begin function _ZN7rocprim17ROCPRIM_304000_NS6detail25onesweep_iteration_kernelINS1_34wrapped_radix_sort_onesweep_configINS0_14default_configEiN2at4cuda3cub6detail10OpaqueTypeILi1EEEEELb0EPKiPiPKSA_PSA_mNS0_19identity_decomposerEEEvT1_T2_T3_T4_jPT5_SO_PNS1_23onesweep_lookback_stateET6_jjj
	.globl	_ZN7rocprim17ROCPRIM_304000_NS6detail25onesweep_iteration_kernelINS1_34wrapped_radix_sort_onesweep_configINS0_14default_configEiN2at4cuda3cub6detail10OpaqueTypeILi1EEEEELb0EPKiPiPKSA_PSA_mNS0_19identity_decomposerEEEvT1_T2_T3_T4_jPT5_SO_PNS1_23onesweep_lookback_stateET6_jjj
	.p2align	8
	.type	_ZN7rocprim17ROCPRIM_304000_NS6detail25onesweep_iteration_kernelINS1_34wrapped_radix_sort_onesweep_configINS0_14default_configEiN2at4cuda3cub6detail10OpaqueTypeILi1EEEEELb0EPKiPiPKSA_PSA_mNS0_19identity_decomposerEEEvT1_T2_T3_T4_jPT5_SO_PNS1_23onesweep_lookback_stateET6_jjj,@function
_ZN7rocprim17ROCPRIM_304000_NS6detail25onesweep_iteration_kernelINS1_34wrapped_radix_sort_onesweep_configINS0_14default_configEiN2at4cuda3cub6detail10OpaqueTypeILi1EEEEELb0EPKiPiPKSA_PSA_mNS0_19identity_decomposerEEEvT1_T2_T3_T4_jPT5_SO_PNS1_23onesweep_lookback_stateET6_jjj: ; @_ZN7rocprim17ROCPRIM_304000_NS6detail25onesweep_iteration_kernelINS1_34wrapped_radix_sort_onesweep_configINS0_14default_configEiN2at4cuda3cub6detail10OpaqueTypeILi1EEEEELb0EPKiPiPKSA_PSA_mNS0_19identity_decomposerEEEvT1_T2_T3_T4_jPT5_SO_PNS1_23onesweep_lookback_stateET6_jjj
; %bb.0:
	s_load_dwordx8 s[92:99], s[0:1], 0x0
	s_load_dwordx4 s[8:11], s[0:1], 0x44
	s_load_dwordx4 s[4:7], s[0:1], 0x28
                                        ; implicit-def: $vgpr104 : SGPR spill to VGPR lane
	s_load_dwordx2 s[90:91], s[0:1], 0x38
	s_mov_b32 s3, s2
	v_mbcnt_lo_u32_b32 v1, -1, 0
	s_waitcnt lgkmcnt(0)
	s_cmp_ge_u32 s2, s10
	v_writelane_b32 v104, s4, 0
	s_nop 1
	v_writelane_b32 v104, s5, 1
	v_writelane_b32 v104, s6, 2
	;; [unrolled: 1-line block ×3, first 2 shown]
	s_mov_b64 s[4:5], -1
	s_mul_i32 s6, s2, 0x1600
	s_cbranch_scc0 .LBB24_284
; %bb.1:
	s_load_dword s11, s[0:1], 0x20
	s_mulk_i32 s10, 0xea00
	s_mov_b32 s7, 0
	s_lshl_b64 s[4:5], s[6:7], 2
	v_mbcnt_hi_u32_b32 v4, -1, v1
	s_waitcnt lgkmcnt(0)
	s_add_i32 s7, s10, s11
	s_add_u32 s4, s92, s4
	v_and_b32_e32 v7, 0xc0, v0
	v_mov_b32_e32 v5, 0
	s_addc_u32 s5, s93, s5
	v_mul_u32_u24_e32 v6, 22, v7
	v_lshlrev_b32_e32 v8, 2, v4
	v_mov_b32_e32 v9, v5
	v_lshl_add_u64 v[8:9], s[4:5], 0, v[8:9]
	v_lshlrev_b32_e32 v10, 2, v6
	v_mov_b32_e32 v11, v5
	v_mov_b32_e32 v3, -1
	v_lshl_add_u64 v[8:9], v[8:9], 0, v[10:11]
	v_or_b32_e32 v10, v4, v6
	v_mov_b32_e32 v12, -1
	v_cmp_gt_u32_e64 s[10:11], s7, v10
	s_mov_b64 s[4:5], exec
	s_nop 0
	v_writelane_b32 v104, s10, 4
	s_nop 1
	v_writelane_b32 v104, s11, 5
	s_and_b64 s[10:11], s[4:5], s[10:11]
	s_mov_b64 exec, s[10:11]
	s_cbranch_execz .LBB24_3
; %bb.2:
	global_load_dword v2, v[8:9], off
	s_waitcnt vmcnt(0)
	v_xor_b32_e32 v12, 0x80000000, v2
.LBB24_3:
	s_or_b64 exec, exec, s[4:5]
	v_add_u32_e32 v2, 64, v10
	v_cmp_gt_u32_e64 s[10:11], s7, v2
	s_mov_b64 s[4:5], exec
	s_nop 0
	v_writelane_b32 v104, s10, 6
	s_nop 1
	v_writelane_b32 v104, s11, 7
	s_and_b64 s[10:11], s[4:5], s[10:11]
	s_mov_b64 exec, s[10:11]
	s_cbranch_execz .LBB24_5
; %bb.4:
	global_load_dword v2, v[8:9], off offset:256
	s_waitcnt vmcnt(0)
	v_xor_b32_e32 v3, 0x80000000, v2
.LBB24_5:
	s_or_b64 exec, exec, s[4:5]
	v_add_u32_e32 v2, 0x80, v10
	v_mov_b32_e32 v13, -1
	v_mov_b32_e32 v14, -1
	v_cmp_gt_u32_e64 s[10:11], s7, v2
	s_mov_b64 s[4:5], exec
	s_nop 0
	v_writelane_b32 v104, s10, 8
	s_nop 1
	v_writelane_b32 v104, s11, 9
	s_and_b64 s[10:11], s[4:5], s[10:11]
	s_mov_b64 exec, s[10:11]
	s_cbranch_execz .LBB24_7
; %bb.6:
	global_load_dword v2, v[8:9], off offset:512
	s_waitcnt vmcnt(0)
	v_xor_b32_e32 v14, 0x80000000, v2
.LBB24_7:
	s_or_b64 exec, exec, s[4:5]
	v_add_u32_e32 v2, 0xc0, v10
	v_cmp_gt_u32_e64 s[10:11], s7, v2
	s_mov_b64 s[4:5], exec
	s_nop 0
	v_writelane_b32 v104, s10, 10
	s_nop 1
	v_writelane_b32 v104, s11, 11
	s_and_b64 s[10:11], s[4:5], s[10:11]
	s_mov_b64 exec, s[10:11]
	s_cbranch_execz .LBB24_9
; %bb.8:
	global_load_dword v2, v[8:9], off offset:768
	s_waitcnt vmcnt(0)
	v_xor_b32_e32 v13, 0x80000000, v2
.LBB24_9:
	s_or_b64 exec, exec, s[4:5]
	v_add_u32_e32 v2, 0x100, v10
	v_cmp_gt_u32_e64 s[4:5], s7, v2
	v_mov_b32_e32 v15, -1
	v_mov_b32_e32 v16, -1
	v_writelane_b32 v104, s4, 12
	s_nop 1
	v_writelane_b32 v104, s5, 13
	s_and_saveexec_b64 s[10:11], s[4:5]
	s_cbranch_execz .LBB24_11
; %bb.10:
	global_load_dword v2, v[8:9], off offset:1024
	s_waitcnt vmcnt(0)
	v_xor_b32_e32 v16, 0x80000000, v2
.LBB24_11:
	s_or_b64 exec, exec, s[10:11]
	v_add_u32_e32 v2, 0x140, v10
	v_cmp_gt_u32_e64 s[4:5], s7, v2
	s_nop 1
	v_writelane_b32 v104, s4, 14
	s_nop 1
	v_writelane_b32 v104, s5, 15
	s_and_saveexec_b64 s[10:11], s[4:5]
	s_cbranch_execz .LBB24_13
; %bb.12:
	global_load_dword v2, v[8:9], off offset:1280
	s_waitcnt vmcnt(0)
	v_xor_b32_e32 v15, 0x80000000, v2
.LBB24_13:
	s_or_b64 exec, exec, s[10:11]
	v_add_u32_e32 v2, 0x180, v10
	v_cmp_gt_u32_e64 s[14:15], s7, v2
	v_mov_b32_e32 v17, -1
	v_mov_b32_e32 v18, -1
	s_and_saveexec_b64 s[10:11], s[14:15]
	s_cbranch_execz .LBB24_15
; %bb.14:
	global_load_dword v2, v[8:9], off offset:1536
	s_waitcnt vmcnt(0)
	v_xor_b32_e32 v18, 0x80000000, v2
.LBB24_15:
	s_or_b64 exec, exec, s[10:11]
	v_add_u32_e32 v2, 0x1c0, v10
	v_cmp_gt_u32_e64 s[16:17], s7, v2
	s_and_saveexec_b64 s[10:11], s[16:17]
	s_cbranch_execz .LBB24_17
; %bb.16:
	global_load_dword v2, v[8:9], off offset:1792
	s_waitcnt vmcnt(0)
	v_xor_b32_e32 v17, 0x80000000, v2
.LBB24_17:
	s_or_b64 exec, exec, s[10:11]
	v_add_u32_e32 v2, 0x200, v10
	v_cmp_gt_u32_e64 s[18:19], s7, v2
	v_mov_b32_e32 v19, -1
	v_mov_b32_e32 v20, -1
	s_and_saveexec_b64 s[10:11], s[18:19]
	s_cbranch_execz .LBB24_19
; %bb.18:
	global_load_dword v2, v[8:9], off offset:2048
	s_waitcnt vmcnt(0)
	v_xor_b32_e32 v20, 0x80000000, v2
.LBB24_19:
	s_or_b64 exec, exec, s[10:11]
	v_add_u32_e32 v2, 0x240, v10
	v_cmp_gt_u32_e64 s[20:21], s7, v2
	;; [unrolled: 22-line block ×5, first 2 shown]
	s_and_saveexec_b64 s[10:11], s[34:35]
	s_cbranch_execz .LBB24_33
; %bb.32:
	global_load_dword v2, v[8:9], off offset:3840
	s_waitcnt vmcnt(0)
	v_xor_b32_e32 v25, 0x80000000, v2
.LBB24_33:
	s_or_b64 exec, exec, s[10:11]
	v_add_u32_e32 v2, 0x400, v10
	v_cmp_gt_u32_e64 s[36:37], s7, v2
	v_mov_b32_e32 v27, -1
	v_mov_b32_e32 v28, -1
	s_and_saveexec_b64 s[10:11], s[36:37]
	s_cbranch_execz .LBB24_35
; %bb.34:
	v_add_co_u32_e32 v28, vcc, 0x1000, v8
	s_nop 1
	v_addc_co_u32_e32 v29, vcc, 0, v9, vcc
	global_load_dword v2, v[28:29], off
	s_waitcnt vmcnt(0)
	v_xor_b32_e32 v28, 0x80000000, v2
.LBB24_35:
	s_or_b64 exec, exec, s[10:11]
	v_add_u32_e32 v2, 0x440, v10
	v_cmp_gt_u32_e64 s[38:39], s7, v2
	s_and_saveexec_b64 s[10:11], s[38:39]
	s_cbranch_execz .LBB24_37
; %bb.36:
	v_add_co_u32_e32 v30, vcc, 0x1000, v8
	s_nop 1
	v_addc_co_u32_e32 v31, vcc, 0, v9, vcc
	global_load_dword v2, v[30:31], off offset:256
	s_waitcnt vmcnt(0)
	v_xor_b32_e32 v27, 0x80000000, v2
.LBB24_37:
	s_or_b64 exec, exec, s[10:11]
	v_add_u32_e32 v2, 0x480, v10
	v_cmp_gt_u32_e64 s[40:41], s7, v2
	v_mov_b32_e32 v29, -1
	v_mov_b32_e32 v30, -1
	s_and_saveexec_b64 s[10:11], s[40:41]
	s_cbranch_execz .LBB24_39
; %bb.38:
	v_add_co_u32_e32 v30, vcc, 0x1000, v8
	s_nop 1
	v_addc_co_u32_e32 v31, vcc, 0, v9, vcc
	global_load_dword v2, v[30:31], off offset:512
	s_waitcnt vmcnt(0)
	v_xor_b32_e32 v30, 0x80000000, v2
.LBB24_39:
	s_or_b64 exec, exec, s[10:11]
	v_add_u32_e32 v2, 0x4c0, v10
	v_cmp_gt_u32_e64 s[42:43], s7, v2
	s_and_saveexec_b64 s[10:11], s[42:43]
	s_cbranch_execz .LBB24_41
; %bb.40:
	v_add_co_u32_e32 v32, vcc, 0x1000, v8
	s_nop 1
	v_addc_co_u32_e32 v33, vcc, 0, v9, vcc
	global_load_dword v2, v[32:33], off offset:768
	s_waitcnt vmcnt(0)
	v_xor_b32_e32 v29, 0x80000000, v2
.LBB24_41:
	s_or_b64 exec, exec, s[10:11]
	v_add_u32_e32 v2, 0x500, v10
	v_cmp_gt_u32_e64 s[44:45], s7, v2
	v_mov_b32_e32 v31, -1
	v_mov_b32_e32 v32, -1
	s_and_saveexec_b64 s[10:11], s[44:45]
	s_cbranch_execz .LBB24_43
; %bb.42:
	v_add_co_u32_e32 v32, vcc, 0x1000, v8
	s_nop 1
	v_addc_co_u32_e32 v33, vcc, 0, v9, vcc
	global_load_dword v2, v[32:33], off offset:1024
	s_waitcnt vmcnt(0)
	v_xor_b32_e32 v32, 0x80000000, v2
.LBB24_43:
	s_or_b64 exec, exec, s[10:11]
	v_add_u32_e32 v10, 0x540, v10
	v_and_b32_e32 v2, 0x3ff, v0
	v_cmp_gt_u32_e64 s[46:47], s7, v10
	s_and_saveexec_b64 s[10:11], s[46:47]
	s_cbranch_execz .LBB24_45
; %bb.44:
	v_add_co_u32_e32 v8, vcc, 0x1000, v8
	s_nop 1
	v_addc_co_u32_e32 v9, vcc, 0, v9, vcc
	global_load_dword v8, v[8:9], off offset:1280
	s_waitcnt vmcnt(0)
	v_xor_b32_e32 v31, 0x80000000, v8
.LBB24_45:
	s_or_b64 exec, exec, s[10:11]
	s_load_dword s4, s[0:1], 0x5c
	s_load_dword s10, s[0:1], 0x50
	s_add_u32 s5, s0, 0x50
	s_addc_u32 s11, s1, 0
	v_mov_b32_e32 v9, 0
	s_waitcnt lgkmcnt(0)
	s_lshr_b32 s4, s4, 16
	s_cmp_lt_u32 s2, s10
	s_cselect_b32 s10, 12, 18
	s_add_u32 s10, s5, s10
	s_addc_u32 s11, s11, 0
	global_load_ushort v48, v9, s[10:11]
	v_bfe_u32 v8, v0, 10, 10
	v_bfe_u32 v11, v0, 20, 10
	v_lshrrev_b32_e32 v35, s8, v12
	v_mad_u32_u24 v49, v11, s4, v8
	s_lshl_b32 s4, -1, s9
	v_bitop3_b32 v45, v35, s4, v35 bitop3:0x30
	v_and_b32_e32 v8, 1, v45
	v_lshlrev_b32_e32 v11, 30, v45
	v_mov_b32_e32 v10, v9
	v_mov_b32_e32 v36, v9
	v_lshlrev_b32_e32 v35, 29, v45
	v_lshlrev_b32_e32 v37, 28, v45
	v_lshl_add_u64 v[46:47], v[8:9], 0, -1
	v_cmp_ne_u32_e32 vcc, 0, v8
	v_not_b32_e32 v8, v11
	v_mov_b32_e32 v34, v9
	v_mov_b32_e32 v38, v9
	v_lshlrev_b32_e32 v39, 27, v45
	v_cmp_gt_i64_e64 s[48:49], 0, v[10:11]
	v_not_b32_e32 v10, v35
	v_cmp_gt_i64_e64 s[52:53], 0, v[36:37]
	v_not_b32_e32 v11, v37
	v_xor_b32_e32 v37, vcc_hi, v47
	v_ashrrev_i32_e32 v8, 31, v8
	v_mov_b32_e32 v40, v9
	v_lshlrev_b32_e32 v41, 26, v45
	v_cmp_gt_i64_e64 s[50:51], 0, v[34:35]
	v_cmp_gt_i64_e64 s[54:55], 0, v[38:39]
	v_not_b32_e32 v34, v39
	v_xor_b32_e32 v38, vcc_lo, v46
	v_ashrrev_i32_e32 v10, 31, v10
	v_and_b32_e32 v37, exec_hi, v37
	v_xor_b32_e32 v39, s49, v8
	v_cmp_gt_i64_e64 s[56:57], 0, v[40:41]
	v_ashrrev_i32_e32 v11, 31, v11
	v_and_b32_e32 v38, exec_lo, v38
	v_xor_b32_e32 v8, s48, v8
	v_xor_b32_e32 v40, s51, v10
	v_and_b32_e32 v37, v37, v39
	v_mov_b32_e32 v42, v9
	v_lshlrev_b32_e32 v43, 25, v45
	v_not_b32_e32 v35, v41
	v_ashrrev_i32_e32 v34, 31, v34
	v_xor_b32_e32 v10, s50, v10
	v_xor_b32_e32 v41, s53, v11
	v_and_b32_e32 v8, v38, v8
	v_and_b32_e32 v37, v37, v40
	v_cmp_gt_i64_e64 s[58:59], 0, v[42:43]
	v_not_b32_e32 v36, v43
	v_ashrrev_i32_e32 v35, 31, v35
	v_xor_b32_e32 v42, s55, v34
	v_and_b32_e32 v8, v8, v10
	v_and_b32_e32 v10, v37, v41
	v_ashrrev_i32_e32 v36, 31, v36
	v_xor_b32_e32 v11, s52, v11
	v_xor_b32_e32 v43, s57, v35
	v_and_b32_e32 v10, v10, v42
	v_xor_b32_e32 v34, s54, v34
	v_xor_b32_e32 v46, s59, v36
	v_and_b32_e32 v8, v8, v11
	v_and_b32_e32 v10, v10, v43
	v_mul_lo_u32 v50, v45, 20
	v_lshlrev_b32_e32 v45, 24, v45
	v_and_b32_e32 v8, v8, v34
	v_and_b32_e32 v34, v10, v46
	v_mov_b32_e32 v44, v9
	v_xor_b32_e32 v35, s56, v35
	v_xor_b32_e32 v36, s58, v36
	v_and_b32_e32 v8, v8, v35
	v_cmp_gt_i64_e32 vcc, 0, v[44:45]
	v_and_b32_e32 v8, v8, v36
	v_mul_u32_u24_e32 v33, 20, v2
	s_not_b32 s33, s4
	ds_write2_b32 v33, v9, v9 offset0:4 offset1:5
	ds_write2_b32 v33, v9, v9 offset0:6 offset1:7
	ds_write_b32 v33, v9 offset:32
	s_waitcnt lgkmcnt(0)
	s_barrier
	s_waitcnt vmcnt(0)
	; wave barrier
	v_mad_u64_u32 v[10:11], s[10:11], v49, v48, v[2:3]
	v_lshrrev_b32_e32 v43, 6, v10
	v_not_b32_e32 v10, v45
	v_ashrrev_i32_e32 v10, 31, v10
	v_xor_b32_e32 v11, vcc_hi, v10
	v_xor_b32_e32 v10, vcc_lo, v10
	v_and_b32_e32 v10, v8, v10
	v_and_b32_e32 v11, v34, v11
	v_mbcnt_lo_u32_b32 v8, v10, 0
	v_mbcnt_hi_u32_b32 v34, v11, v8
	v_cmp_eq_u32_e32 vcc, 0, v34
	v_cmp_ne_u64_e64 s[48:49], 0, v[10:11]
	v_lshl_add_u32 v35, v43, 2, v50
	s_and_b64 s[48:49], s[48:49], vcc
	s_and_saveexec_b64 s[10:11], s[48:49]
; %bb.46:
	v_bcnt_u32_b32 v8, v10, 0
	v_bcnt_u32_b32 v8, v11, v8
	ds_write_b32 v35, v8 offset:16
; %bb.47:
	s_or_b64 exec, exec, s[10:11]
	v_lshrrev_b32_e32 v8, s8, v3
	v_and_b32_e32 v38, s33, v8
	v_mul_lo_u32 v8, v38, 20
	v_lshl_add_u32 v37, v43, 2, v8
	v_and_b32_e32 v8, 1, v38
	v_lshl_add_u64 v[10:11], v[8:9], 0, -1
	v_cmp_ne_u32_e32 vcc, 0, v8
	; wave barrier
	s_nop 1
	v_xor_b32_e32 v10, vcc_lo, v10
	v_xor_b32_e32 v8, vcc_hi, v11
	v_and_b32_e32 v39, exec_lo, v10
	v_lshlrev_b32_e32 v11, 30, v38
	v_mov_b32_e32 v10, v9
	v_cmp_gt_i64_e32 vcc, 0, v[10:11]
	v_not_b32_e32 v10, v11
	v_ashrrev_i32_e32 v10, 31, v10
	v_and_b32_e32 v8, exec_hi, v8
	v_xor_b32_e32 v11, vcc_hi, v10
	v_xor_b32_e32 v10, vcc_lo, v10
	v_and_b32_e32 v8, v8, v11
	v_and_b32_e32 v39, v39, v10
	v_lshlrev_b32_e32 v11, 29, v38
	v_mov_b32_e32 v10, v9
	v_cmp_gt_i64_e32 vcc, 0, v[10:11]
	v_not_b32_e32 v10, v11
	v_ashrrev_i32_e32 v10, 31, v10
	v_xor_b32_e32 v11, vcc_hi, v10
	v_xor_b32_e32 v10, vcc_lo, v10
	v_and_b32_e32 v8, v8, v11
	v_and_b32_e32 v39, v39, v10
	v_lshlrev_b32_e32 v11, 28, v38
	v_mov_b32_e32 v10, v9
	v_cmp_gt_i64_e32 vcc, 0, v[10:11]
	v_not_b32_e32 v10, v11
	v_ashrrev_i32_e32 v10, 31, v10
	;; [unrolled: 9-line block ×5, first 2 shown]
	v_xor_b32_e32 v11, vcc_hi, v10
	v_xor_b32_e32 v10, vcc_lo, v10
	v_and_b32_e32 v8, v8, v11
	v_lshlrev_b32_e32 v11, 24, v38
	v_and_b32_e32 v39, v39, v10
	v_mov_b32_e32 v10, v9
	v_not_b32_e32 v9, v11
	v_cmp_gt_i64_e32 vcc, 0, v[10:11]
	v_ashrrev_i32_e32 v9, 31, v9
	ds_read_b32 v36, v37 offset:16
	v_xor_b32_e32 v10, vcc_hi, v9
	v_xor_b32_e32 v11, vcc_lo, v9
	v_and_b32_e32 v9, v8, v10
	v_and_b32_e32 v8, v39, v11
	v_mbcnt_lo_u32_b32 v10, v8, 0
	v_mbcnt_hi_u32_b32 v38, v9, v10
	v_cmp_eq_u32_e32 vcc, 0, v38
	v_cmp_ne_u64_e64 s[48:49], 0, v[8:9]
	s_and_b64 s[48:49], s[48:49], vcc
	; wave barrier
	s_and_saveexec_b64 s[10:11], s[48:49]
	s_cbranch_execz .LBB24_49
; %bb.48:
	v_bcnt_u32_b32 v8, v8, 0
	v_bcnt_u32_b32 v8, v9, v8
	s_waitcnt lgkmcnt(0)
	v_add_u32_e32 v8, v36, v8
	ds_write_b32 v37, v8 offset:16
.LBB24_49:
	s_or_b64 exec, exec, s[10:11]
	v_lshrrev_b32_e32 v8, s8, v14
	v_and_b32_e32 v41, s33, v8
	v_mul_lo_u32 v8, v41, 20
	v_lshl_add_u32 v40, v43, 2, v8
	v_and_b32_e32 v8, 1, v41
	v_mov_b32_e32 v9, 0
	v_lshl_add_u64 v[10:11], v[8:9], 0, -1
	v_cmp_ne_u32_e32 vcc, 0, v8
	; wave barrier
	s_nop 1
	v_xor_b32_e32 v10, vcc_lo, v10
	v_xor_b32_e32 v8, vcc_hi, v11
	v_and_b32_e32 v42, exec_lo, v10
	v_lshlrev_b32_e32 v11, 30, v41
	v_mov_b32_e32 v10, v9
	v_cmp_gt_i64_e32 vcc, 0, v[10:11]
	v_not_b32_e32 v10, v11
	v_ashrrev_i32_e32 v10, 31, v10
	v_and_b32_e32 v8, exec_hi, v8
	v_xor_b32_e32 v11, vcc_hi, v10
	v_xor_b32_e32 v10, vcc_lo, v10
	v_and_b32_e32 v8, v8, v11
	v_and_b32_e32 v42, v42, v10
	v_lshlrev_b32_e32 v11, 29, v41
	v_mov_b32_e32 v10, v9
	v_cmp_gt_i64_e32 vcc, 0, v[10:11]
	v_not_b32_e32 v10, v11
	v_ashrrev_i32_e32 v10, 31, v10
	v_xor_b32_e32 v11, vcc_hi, v10
	v_xor_b32_e32 v10, vcc_lo, v10
	v_and_b32_e32 v8, v8, v11
	v_and_b32_e32 v42, v42, v10
	v_lshlrev_b32_e32 v11, 28, v41
	v_mov_b32_e32 v10, v9
	v_cmp_gt_i64_e32 vcc, 0, v[10:11]
	v_not_b32_e32 v10, v11
	v_ashrrev_i32_e32 v10, 31, v10
	;; [unrolled: 9-line block ×6, first 2 shown]
	v_xor_b32_e32 v11, vcc_hi, v10
	v_xor_b32_e32 v10, vcc_lo, v10
	ds_read_b32 v39, v40 offset:16
	v_and_b32_e32 v10, v42, v10
	v_and_b32_e32 v11, v8, v11
	v_mbcnt_lo_u32_b32 v8, v10, 0
	v_mbcnt_hi_u32_b32 v41, v11, v8
	v_cmp_eq_u32_e32 vcc, 0, v41
	v_cmp_ne_u64_e64 s[48:49], 0, v[10:11]
	s_and_b64 s[48:49], s[48:49], vcc
	; wave barrier
	s_and_saveexec_b64 s[10:11], s[48:49]
	s_cbranch_execz .LBB24_51
; %bb.50:
	v_bcnt_u32_b32 v8, v10, 0
	v_bcnt_u32_b32 v8, v11, v8
	s_waitcnt lgkmcnt(0)
	v_add_u32_e32 v8, v39, v8
	ds_write_b32 v40, v8 offset:16
.LBB24_51:
	s_or_b64 exec, exec, s[10:11]
	v_lshrrev_b32_e32 v8, s8, v13
	v_and_b32_e32 v45, s33, v8
	v_mul_lo_u32 v8, v45, 20
	v_lshl_add_u32 v44, v43, 2, v8
	v_and_b32_e32 v8, 1, v45
	v_lshl_add_u64 v[10:11], v[8:9], 0, -1
	v_cmp_ne_u32_e32 vcc, 0, v8
	; wave barrier
	s_nop 1
	v_xor_b32_e32 v10, vcc_lo, v10
	v_xor_b32_e32 v8, vcc_hi, v11
	v_and_b32_e32 v46, exec_lo, v10
	v_lshlrev_b32_e32 v11, 30, v45
	v_mov_b32_e32 v10, v9
	v_cmp_gt_i64_e32 vcc, 0, v[10:11]
	v_not_b32_e32 v10, v11
	v_ashrrev_i32_e32 v10, 31, v10
	v_and_b32_e32 v8, exec_hi, v8
	v_xor_b32_e32 v11, vcc_hi, v10
	v_xor_b32_e32 v10, vcc_lo, v10
	v_and_b32_e32 v8, v8, v11
	v_and_b32_e32 v46, v46, v10
	v_lshlrev_b32_e32 v11, 29, v45
	v_mov_b32_e32 v10, v9
	v_cmp_gt_i64_e32 vcc, 0, v[10:11]
	v_not_b32_e32 v10, v11
	v_ashrrev_i32_e32 v10, 31, v10
	v_xor_b32_e32 v11, vcc_hi, v10
	v_xor_b32_e32 v10, vcc_lo, v10
	v_and_b32_e32 v8, v8, v11
	v_and_b32_e32 v46, v46, v10
	v_lshlrev_b32_e32 v11, 28, v45
	v_mov_b32_e32 v10, v9
	v_cmp_gt_i64_e32 vcc, 0, v[10:11]
	v_not_b32_e32 v10, v11
	v_ashrrev_i32_e32 v10, 31, v10
	;; [unrolled: 9-line block ×5, first 2 shown]
	v_xor_b32_e32 v11, vcc_hi, v10
	v_xor_b32_e32 v10, vcc_lo, v10
	v_and_b32_e32 v8, v8, v11
	v_lshlrev_b32_e32 v11, 24, v45
	v_and_b32_e32 v46, v46, v10
	v_mov_b32_e32 v10, v9
	v_not_b32_e32 v9, v11
	v_cmp_gt_i64_e32 vcc, 0, v[10:11]
	v_ashrrev_i32_e32 v9, 31, v9
	ds_read_b32 v42, v44 offset:16
	v_xor_b32_e32 v10, vcc_hi, v9
	v_xor_b32_e32 v11, vcc_lo, v9
	v_and_b32_e32 v9, v8, v10
	v_and_b32_e32 v8, v46, v11
	v_mbcnt_lo_u32_b32 v10, v8, 0
	v_mbcnt_hi_u32_b32 v45, v9, v10
	v_cmp_eq_u32_e32 vcc, 0, v45
	v_cmp_ne_u64_e64 s[48:49], 0, v[8:9]
	s_and_b64 s[48:49], s[48:49], vcc
	; wave barrier
	s_and_saveexec_b64 s[10:11], s[48:49]
	s_cbranch_execz .LBB24_53
; %bb.52:
	v_bcnt_u32_b32 v8, v8, 0
	v_bcnt_u32_b32 v8, v9, v8
	s_waitcnt lgkmcnt(0)
	v_add_u32_e32 v8, v42, v8
	ds_write_b32 v44, v8 offset:16
.LBB24_53:
	s_or_b64 exec, exec, s[10:11]
	v_lshrrev_b32_e32 v8, s8, v16
	v_and_b32_e32 v48, s33, v8
	v_mul_lo_u32 v8, v48, 20
	v_lshl_add_u32 v47, v43, 2, v8
	v_and_b32_e32 v8, 1, v48
	v_mov_b32_e32 v9, 0
	v_lshl_add_u64 v[10:11], v[8:9], 0, -1
	v_cmp_ne_u32_e32 vcc, 0, v8
	; wave barrier
	s_nop 1
	v_xor_b32_e32 v10, vcc_lo, v10
	v_xor_b32_e32 v8, vcc_hi, v11
	v_and_b32_e32 v49, exec_lo, v10
	v_lshlrev_b32_e32 v11, 30, v48
	v_mov_b32_e32 v10, v9
	v_cmp_gt_i64_e32 vcc, 0, v[10:11]
	v_not_b32_e32 v10, v11
	v_ashrrev_i32_e32 v10, 31, v10
	v_and_b32_e32 v8, exec_hi, v8
	v_xor_b32_e32 v11, vcc_hi, v10
	v_xor_b32_e32 v10, vcc_lo, v10
	v_and_b32_e32 v8, v8, v11
	v_and_b32_e32 v49, v49, v10
	v_lshlrev_b32_e32 v11, 29, v48
	v_mov_b32_e32 v10, v9
	v_cmp_gt_i64_e32 vcc, 0, v[10:11]
	v_not_b32_e32 v10, v11
	v_ashrrev_i32_e32 v10, 31, v10
	v_xor_b32_e32 v11, vcc_hi, v10
	v_xor_b32_e32 v10, vcc_lo, v10
	v_and_b32_e32 v8, v8, v11
	v_and_b32_e32 v49, v49, v10
	v_lshlrev_b32_e32 v11, 28, v48
	v_mov_b32_e32 v10, v9
	v_cmp_gt_i64_e32 vcc, 0, v[10:11]
	v_not_b32_e32 v10, v11
	v_ashrrev_i32_e32 v10, 31, v10
	;; [unrolled: 9-line block ×6, first 2 shown]
	v_xor_b32_e32 v11, vcc_hi, v10
	v_xor_b32_e32 v10, vcc_lo, v10
	ds_read_b32 v46, v47 offset:16
	v_and_b32_e32 v10, v49, v10
	v_and_b32_e32 v11, v8, v11
	v_mbcnt_lo_u32_b32 v8, v10, 0
	v_mbcnt_hi_u32_b32 v48, v11, v8
	v_cmp_eq_u32_e32 vcc, 0, v48
	v_cmp_ne_u64_e64 s[48:49], 0, v[10:11]
	s_and_b64 s[48:49], s[48:49], vcc
	; wave barrier
	s_and_saveexec_b64 s[10:11], s[48:49]
	s_cbranch_execz .LBB24_55
; %bb.54:
	v_bcnt_u32_b32 v8, v10, 0
	v_bcnt_u32_b32 v8, v11, v8
	s_waitcnt lgkmcnt(0)
	v_add_u32_e32 v8, v46, v8
	ds_write_b32 v47, v8 offset:16
.LBB24_55:
	s_or_b64 exec, exec, s[10:11]
	v_lshrrev_b32_e32 v8, s8, v15
	v_and_b32_e32 v51, s33, v8
	v_mul_lo_u32 v8, v51, 20
	v_lshl_add_u32 v50, v43, 2, v8
	v_and_b32_e32 v8, 1, v51
	v_lshl_add_u64 v[10:11], v[8:9], 0, -1
	v_cmp_ne_u32_e32 vcc, 0, v8
	; wave barrier
	s_nop 1
	v_xor_b32_e32 v10, vcc_lo, v10
	v_xor_b32_e32 v8, vcc_hi, v11
	v_and_b32_e32 v52, exec_lo, v10
	v_lshlrev_b32_e32 v11, 30, v51
	v_mov_b32_e32 v10, v9
	v_cmp_gt_i64_e32 vcc, 0, v[10:11]
	v_not_b32_e32 v10, v11
	v_ashrrev_i32_e32 v10, 31, v10
	v_and_b32_e32 v8, exec_hi, v8
	v_xor_b32_e32 v11, vcc_hi, v10
	v_xor_b32_e32 v10, vcc_lo, v10
	v_and_b32_e32 v8, v8, v11
	v_and_b32_e32 v52, v52, v10
	v_lshlrev_b32_e32 v11, 29, v51
	v_mov_b32_e32 v10, v9
	v_cmp_gt_i64_e32 vcc, 0, v[10:11]
	v_not_b32_e32 v10, v11
	v_ashrrev_i32_e32 v10, 31, v10
	v_xor_b32_e32 v11, vcc_hi, v10
	v_xor_b32_e32 v10, vcc_lo, v10
	v_and_b32_e32 v8, v8, v11
	v_and_b32_e32 v52, v52, v10
	v_lshlrev_b32_e32 v11, 28, v51
	v_mov_b32_e32 v10, v9
	v_cmp_gt_i64_e32 vcc, 0, v[10:11]
	v_not_b32_e32 v10, v11
	v_ashrrev_i32_e32 v10, 31, v10
	;; [unrolled: 9-line block ×5, first 2 shown]
	v_xor_b32_e32 v11, vcc_hi, v10
	v_xor_b32_e32 v10, vcc_lo, v10
	v_and_b32_e32 v8, v8, v11
	v_lshlrev_b32_e32 v11, 24, v51
	v_and_b32_e32 v52, v52, v10
	v_mov_b32_e32 v10, v9
	v_not_b32_e32 v9, v11
	v_cmp_gt_i64_e32 vcc, 0, v[10:11]
	v_ashrrev_i32_e32 v9, 31, v9
	ds_read_b32 v49, v50 offset:16
	v_xor_b32_e32 v10, vcc_hi, v9
	v_xor_b32_e32 v11, vcc_lo, v9
	v_and_b32_e32 v9, v8, v10
	v_and_b32_e32 v8, v52, v11
	v_mbcnt_lo_u32_b32 v10, v8, 0
	v_mbcnt_hi_u32_b32 v51, v9, v10
	v_cmp_eq_u32_e32 vcc, 0, v51
	v_cmp_ne_u64_e64 s[48:49], 0, v[8:9]
	s_and_b64 s[48:49], s[48:49], vcc
	; wave barrier
	s_and_saveexec_b64 s[10:11], s[48:49]
	s_cbranch_execz .LBB24_57
; %bb.56:
	v_bcnt_u32_b32 v8, v8, 0
	v_bcnt_u32_b32 v8, v9, v8
	s_waitcnt lgkmcnt(0)
	v_add_u32_e32 v8, v49, v8
	ds_write_b32 v50, v8 offset:16
.LBB24_57:
	s_or_b64 exec, exec, s[10:11]
	v_lshrrev_b32_e32 v8, s8, v18
	v_and_b32_e32 v54, s33, v8
	v_mul_lo_u32 v8, v54, 20
	v_lshl_add_u32 v53, v43, 2, v8
	v_and_b32_e32 v8, 1, v54
	v_mov_b32_e32 v9, 0
	v_lshl_add_u64 v[10:11], v[8:9], 0, -1
	v_cmp_ne_u32_e32 vcc, 0, v8
	; wave barrier
	s_nop 1
	v_xor_b32_e32 v10, vcc_lo, v10
	v_xor_b32_e32 v8, vcc_hi, v11
	v_and_b32_e32 v55, exec_lo, v10
	v_lshlrev_b32_e32 v11, 30, v54
	v_mov_b32_e32 v10, v9
	v_cmp_gt_i64_e32 vcc, 0, v[10:11]
	v_not_b32_e32 v10, v11
	v_ashrrev_i32_e32 v10, 31, v10
	v_and_b32_e32 v8, exec_hi, v8
	v_xor_b32_e32 v11, vcc_hi, v10
	v_xor_b32_e32 v10, vcc_lo, v10
	v_and_b32_e32 v8, v8, v11
	v_and_b32_e32 v55, v55, v10
	v_lshlrev_b32_e32 v11, 29, v54
	v_mov_b32_e32 v10, v9
	v_cmp_gt_i64_e32 vcc, 0, v[10:11]
	v_not_b32_e32 v10, v11
	v_ashrrev_i32_e32 v10, 31, v10
	v_xor_b32_e32 v11, vcc_hi, v10
	v_xor_b32_e32 v10, vcc_lo, v10
	v_and_b32_e32 v8, v8, v11
	v_and_b32_e32 v55, v55, v10
	v_lshlrev_b32_e32 v11, 28, v54
	v_mov_b32_e32 v10, v9
	v_cmp_gt_i64_e32 vcc, 0, v[10:11]
	v_not_b32_e32 v10, v11
	v_ashrrev_i32_e32 v10, 31, v10
	;; [unrolled: 9-line block ×6, first 2 shown]
	v_xor_b32_e32 v11, vcc_hi, v10
	v_xor_b32_e32 v10, vcc_lo, v10
	ds_read_b32 v52, v53 offset:16
	v_and_b32_e32 v10, v55, v10
	v_and_b32_e32 v11, v8, v11
	v_mbcnt_lo_u32_b32 v8, v10, 0
	v_mbcnt_hi_u32_b32 v54, v11, v8
	v_cmp_eq_u32_e32 vcc, 0, v54
	v_cmp_ne_u64_e64 s[48:49], 0, v[10:11]
	s_and_b64 s[48:49], s[48:49], vcc
	; wave barrier
	s_and_saveexec_b64 s[10:11], s[48:49]
	s_cbranch_execz .LBB24_59
; %bb.58:
	v_bcnt_u32_b32 v8, v10, 0
	v_bcnt_u32_b32 v8, v11, v8
	s_waitcnt lgkmcnt(0)
	v_add_u32_e32 v8, v52, v8
	ds_write_b32 v53, v8 offset:16
.LBB24_59:
	s_or_b64 exec, exec, s[10:11]
	v_lshrrev_b32_e32 v8, s8, v17
	v_and_b32_e32 v57, s33, v8
	v_mul_lo_u32 v8, v57, 20
	v_lshl_add_u32 v56, v43, 2, v8
	v_and_b32_e32 v8, 1, v57
	v_lshl_add_u64 v[10:11], v[8:9], 0, -1
	v_cmp_ne_u32_e32 vcc, 0, v8
	; wave barrier
	s_nop 1
	v_xor_b32_e32 v10, vcc_lo, v10
	v_xor_b32_e32 v8, vcc_hi, v11
	v_and_b32_e32 v58, exec_lo, v10
	v_lshlrev_b32_e32 v11, 30, v57
	v_mov_b32_e32 v10, v9
	v_cmp_gt_i64_e32 vcc, 0, v[10:11]
	v_not_b32_e32 v10, v11
	v_ashrrev_i32_e32 v10, 31, v10
	v_and_b32_e32 v8, exec_hi, v8
	v_xor_b32_e32 v11, vcc_hi, v10
	v_xor_b32_e32 v10, vcc_lo, v10
	v_and_b32_e32 v8, v8, v11
	v_and_b32_e32 v58, v58, v10
	v_lshlrev_b32_e32 v11, 29, v57
	v_mov_b32_e32 v10, v9
	v_cmp_gt_i64_e32 vcc, 0, v[10:11]
	v_not_b32_e32 v10, v11
	v_ashrrev_i32_e32 v10, 31, v10
	v_xor_b32_e32 v11, vcc_hi, v10
	v_xor_b32_e32 v10, vcc_lo, v10
	v_and_b32_e32 v8, v8, v11
	v_and_b32_e32 v58, v58, v10
	v_lshlrev_b32_e32 v11, 28, v57
	v_mov_b32_e32 v10, v9
	v_cmp_gt_i64_e32 vcc, 0, v[10:11]
	v_not_b32_e32 v10, v11
	v_ashrrev_i32_e32 v10, 31, v10
	;; [unrolled: 9-line block ×5, first 2 shown]
	v_xor_b32_e32 v11, vcc_hi, v10
	v_xor_b32_e32 v10, vcc_lo, v10
	v_and_b32_e32 v8, v8, v11
	v_lshlrev_b32_e32 v11, 24, v57
	v_and_b32_e32 v58, v58, v10
	v_mov_b32_e32 v10, v9
	v_not_b32_e32 v9, v11
	v_cmp_gt_i64_e32 vcc, 0, v[10:11]
	v_ashrrev_i32_e32 v9, 31, v9
	ds_read_b32 v55, v56 offset:16
	v_xor_b32_e32 v10, vcc_hi, v9
	v_xor_b32_e32 v11, vcc_lo, v9
	v_and_b32_e32 v9, v8, v10
	v_and_b32_e32 v8, v58, v11
	v_mbcnt_lo_u32_b32 v10, v8, 0
	v_mbcnt_hi_u32_b32 v57, v9, v10
	v_cmp_eq_u32_e32 vcc, 0, v57
	v_cmp_ne_u64_e64 s[48:49], 0, v[8:9]
	s_and_b64 s[48:49], s[48:49], vcc
	; wave barrier
	s_and_saveexec_b64 s[10:11], s[48:49]
	s_cbranch_execz .LBB24_61
; %bb.60:
	v_bcnt_u32_b32 v8, v8, 0
	v_bcnt_u32_b32 v8, v9, v8
	s_waitcnt lgkmcnt(0)
	v_add_u32_e32 v8, v55, v8
	ds_write_b32 v56, v8 offset:16
.LBB24_61:
	s_or_b64 exec, exec, s[10:11]
	v_lshrrev_b32_e32 v8, s8, v20
	v_and_b32_e32 v60, s33, v8
	v_mul_lo_u32 v8, v60, 20
	v_lshl_add_u32 v59, v43, 2, v8
	v_and_b32_e32 v8, 1, v60
	v_mov_b32_e32 v9, 0
	v_lshl_add_u64 v[10:11], v[8:9], 0, -1
	v_cmp_ne_u32_e32 vcc, 0, v8
	; wave barrier
	s_nop 1
	v_xor_b32_e32 v10, vcc_lo, v10
	v_xor_b32_e32 v8, vcc_hi, v11
	v_and_b32_e32 v61, exec_lo, v10
	v_lshlrev_b32_e32 v11, 30, v60
	v_mov_b32_e32 v10, v9
	v_cmp_gt_i64_e32 vcc, 0, v[10:11]
	v_not_b32_e32 v10, v11
	v_ashrrev_i32_e32 v10, 31, v10
	v_and_b32_e32 v8, exec_hi, v8
	v_xor_b32_e32 v11, vcc_hi, v10
	v_xor_b32_e32 v10, vcc_lo, v10
	v_and_b32_e32 v8, v8, v11
	v_and_b32_e32 v61, v61, v10
	v_lshlrev_b32_e32 v11, 29, v60
	v_mov_b32_e32 v10, v9
	v_cmp_gt_i64_e32 vcc, 0, v[10:11]
	v_not_b32_e32 v10, v11
	v_ashrrev_i32_e32 v10, 31, v10
	v_xor_b32_e32 v11, vcc_hi, v10
	v_xor_b32_e32 v10, vcc_lo, v10
	v_and_b32_e32 v8, v8, v11
	v_and_b32_e32 v61, v61, v10
	v_lshlrev_b32_e32 v11, 28, v60
	v_mov_b32_e32 v10, v9
	v_cmp_gt_i64_e32 vcc, 0, v[10:11]
	v_not_b32_e32 v10, v11
	v_ashrrev_i32_e32 v10, 31, v10
	;; [unrolled: 9-line block ×6, first 2 shown]
	v_xor_b32_e32 v11, vcc_hi, v10
	v_xor_b32_e32 v10, vcc_lo, v10
	ds_read_b32 v58, v59 offset:16
	v_and_b32_e32 v10, v61, v10
	v_and_b32_e32 v11, v8, v11
	v_mbcnt_lo_u32_b32 v8, v10, 0
	v_mbcnt_hi_u32_b32 v60, v11, v8
	v_cmp_eq_u32_e32 vcc, 0, v60
	v_cmp_ne_u64_e64 s[48:49], 0, v[10:11]
	s_and_b64 s[48:49], s[48:49], vcc
	; wave barrier
	s_and_saveexec_b64 s[10:11], s[48:49]
	s_cbranch_execz .LBB24_63
; %bb.62:
	v_bcnt_u32_b32 v8, v10, 0
	v_bcnt_u32_b32 v8, v11, v8
	s_waitcnt lgkmcnt(0)
	v_add_u32_e32 v8, v58, v8
	ds_write_b32 v59, v8 offset:16
.LBB24_63:
	s_or_b64 exec, exec, s[10:11]
	v_lshrrev_b32_e32 v8, s8, v19
	v_and_b32_e32 v63, s33, v8
	v_mul_lo_u32 v8, v63, 20
	v_lshl_add_u32 v62, v43, 2, v8
	v_and_b32_e32 v8, 1, v63
	v_lshl_add_u64 v[10:11], v[8:9], 0, -1
	v_cmp_ne_u32_e32 vcc, 0, v8
	; wave barrier
	s_nop 1
	v_xor_b32_e32 v10, vcc_lo, v10
	v_xor_b32_e32 v8, vcc_hi, v11
	v_and_b32_e32 v64, exec_lo, v10
	v_lshlrev_b32_e32 v11, 30, v63
	v_mov_b32_e32 v10, v9
	v_cmp_gt_i64_e32 vcc, 0, v[10:11]
	v_not_b32_e32 v10, v11
	v_ashrrev_i32_e32 v10, 31, v10
	v_and_b32_e32 v8, exec_hi, v8
	v_xor_b32_e32 v11, vcc_hi, v10
	v_xor_b32_e32 v10, vcc_lo, v10
	v_and_b32_e32 v8, v8, v11
	v_and_b32_e32 v64, v64, v10
	v_lshlrev_b32_e32 v11, 29, v63
	v_mov_b32_e32 v10, v9
	v_cmp_gt_i64_e32 vcc, 0, v[10:11]
	v_not_b32_e32 v10, v11
	v_ashrrev_i32_e32 v10, 31, v10
	v_xor_b32_e32 v11, vcc_hi, v10
	v_xor_b32_e32 v10, vcc_lo, v10
	v_and_b32_e32 v8, v8, v11
	v_and_b32_e32 v64, v64, v10
	v_lshlrev_b32_e32 v11, 28, v63
	v_mov_b32_e32 v10, v9
	v_cmp_gt_i64_e32 vcc, 0, v[10:11]
	v_not_b32_e32 v10, v11
	v_ashrrev_i32_e32 v10, 31, v10
	;; [unrolled: 9-line block ×5, first 2 shown]
	v_xor_b32_e32 v11, vcc_hi, v10
	v_xor_b32_e32 v10, vcc_lo, v10
	v_and_b32_e32 v8, v8, v11
	v_lshlrev_b32_e32 v11, 24, v63
	v_and_b32_e32 v64, v64, v10
	v_mov_b32_e32 v10, v9
	v_not_b32_e32 v9, v11
	v_cmp_gt_i64_e32 vcc, 0, v[10:11]
	v_ashrrev_i32_e32 v9, 31, v9
	ds_read_b32 v61, v62 offset:16
	v_xor_b32_e32 v10, vcc_hi, v9
	v_xor_b32_e32 v11, vcc_lo, v9
	v_and_b32_e32 v9, v8, v10
	v_and_b32_e32 v8, v64, v11
	v_mbcnt_lo_u32_b32 v10, v8, 0
	v_mbcnt_hi_u32_b32 v63, v9, v10
	v_cmp_eq_u32_e32 vcc, 0, v63
	v_cmp_ne_u64_e64 s[48:49], 0, v[8:9]
	s_and_b64 s[48:49], s[48:49], vcc
	; wave barrier
	s_and_saveexec_b64 s[10:11], s[48:49]
	s_cbranch_execz .LBB24_65
; %bb.64:
	v_bcnt_u32_b32 v8, v8, 0
	v_bcnt_u32_b32 v8, v9, v8
	s_waitcnt lgkmcnt(0)
	v_add_u32_e32 v8, v61, v8
	ds_write_b32 v62, v8 offset:16
.LBB24_65:
	s_or_b64 exec, exec, s[10:11]
	v_lshrrev_b32_e32 v8, s8, v22
	v_and_b32_e32 v66, s33, v8
	v_mul_lo_u32 v8, v66, 20
	v_lshl_add_u32 v65, v43, 2, v8
	v_and_b32_e32 v8, 1, v66
	v_mov_b32_e32 v9, 0
	v_lshl_add_u64 v[10:11], v[8:9], 0, -1
	v_cmp_ne_u32_e32 vcc, 0, v8
	; wave barrier
	s_nop 1
	v_xor_b32_e32 v10, vcc_lo, v10
	v_xor_b32_e32 v8, vcc_hi, v11
	v_and_b32_e32 v67, exec_lo, v10
	v_lshlrev_b32_e32 v11, 30, v66
	v_mov_b32_e32 v10, v9
	v_cmp_gt_i64_e32 vcc, 0, v[10:11]
	v_not_b32_e32 v10, v11
	v_ashrrev_i32_e32 v10, 31, v10
	v_and_b32_e32 v8, exec_hi, v8
	v_xor_b32_e32 v11, vcc_hi, v10
	v_xor_b32_e32 v10, vcc_lo, v10
	v_and_b32_e32 v8, v8, v11
	v_and_b32_e32 v67, v67, v10
	v_lshlrev_b32_e32 v11, 29, v66
	v_mov_b32_e32 v10, v9
	v_cmp_gt_i64_e32 vcc, 0, v[10:11]
	v_not_b32_e32 v10, v11
	v_ashrrev_i32_e32 v10, 31, v10
	v_xor_b32_e32 v11, vcc_hi, v10
	v_xor_b32_e32 v10, vcc_lo, v10
	v_and_b32_e32 v8, v8, v11
	v_and_b32_e32 v67, v67, v10
	v_lshlrev_b32_e32 v11, 28, v66
	v_mov_b32_e32 v10, v9
	v_cmp_gt_i64_e32 vcc, 0, v[10:11]
	v_not_b32_e32 v10, v11
	v_ashrrev_i32_e32 v10, 31, v10
	;; [unrolled: 9-line block ×6, first 2 shown]
	v_xor_b32_e32 v11, vcc_hi, v10
	v_xor_b32_e32 v10, vcc_lo, v10
	ds_read_b32 v64, v65 offset:16
	v_and_b32_e32 v10, v67, v10
	v_and_b32_e32 v11, v8, v11
	v_mbcnt_lo_u32_b32 v8, v10, 0
	v_mbcnt_hi_u32_b32 v66, v11, v8
	v_cmp_eq_u32_e32 vcc, 0, v66
	v_cmp_ne_u64_e64 s[48:49], 0, v[10:11]
	s_and_b64 s[48:49], s[48:49], vcc
	; wave barrier
	s_and_saveexec_b64 s[10:11], s[48:49]
	s_cbranch_execz .LBB24_67
; %bb.66:
	v_bcnt_u32_b32 v8, v10, 0
	v_bcnt_u32_b32 v8, v11, v8
	s_waitcnt lgkmcnt(0)
	v_add_u32_e32 v8, v64, v8
	ds_write_b32 v65, v8 offset:16
.LBB24_67:
	s_or_b64 exec, exec, s[10:11]
	v_lshrrev_b32_e32 v8, s8, v21
	v_and_b32_e32 v69, s33, v8
	v_mul_lo_u32 v8, v69, 20
	v_lshl_add_u32 v68, v43, 2, v8
	v_and_b32_e32 v8, 1, v69
	v_lshl_add_u64 v[10:11], v[8:9], 0, -1
	v_cmp_ne_u32_e32 vcc, 0, v8
	; wave barrier
	s_nop 1
	v_xor_b32_e32 v10, vcc_lo, v10
	v_xor_b32_e32 v8, vcc_hi, v11
	v_and_b32_e32 v70, exec_lo, v10
	v_lshlrev_b32_e32 v11, 30, v69
	v_mov_b32_e32 v10, v9
	v_cmp_gt_i64_e32 vcc, 0, v[10:11]
	v_not_b32_e32 v10, v11
	v_ashrrev_i32_e32 v10, 31, v10
	v_and_b32_e32 v8, exec_hi, v8
	v_xor_b32_e32 v11, vcc_hi, v10
	v_xor_b32_e32 v10, vcc_lo, v10
	v_and_b32_e32 v8, v8, v11
	v_and_b32_e32 v70, v70, v10
	v_lshlrev_b32_e32 v11, 29, v69
	v_mov_b32_e32 v10, v9
	v_cmp_gt_i64_e32 vcc, 0, v[10:11]
	v_not_b32_e32 v10, v11
	v_ashrrev_i32_e32 v10, 31, v10
	v_xor_b32_e32 v11, vcc_hi, v10
	v_xor_b32_e32 v10, vcc_lo, v10
	v_and_b32_e32 v8, v8, v11
	v_and_b32_e32 v70, v70, v10
	v_lshlrev_b32_e32 v11, 28, v69
	v_mov_b32_e32 v10, v9
	v_cmp_gt_i64_e32 vcc, 0, v[10:11]
	v_not_b32_e32 v10, v11
	v_ashrrev_i32_e32 v10, 31, v10
	;; [unrolled: 9-line block ×5, first 2 shown]
	v_xor_b32_e32 v11, vcc_hi, v10
	v_xor_b32_e32 v10, vcc_lo, v10
	v_and_b32_e32 v8, v8, v11
	v_lshlrev_b32_e32 v11, 24, v69
	v_and_b32_e32 v70, v70, v10
	v_mov_b32_e32 v10, v9
	v_not_b32_e32 v9, v11
	v_cmp_gt_i64_e32 vcc, 0, v[10:11]
	v_ashrrev_i32_e32 v9, 31, v9
	ds_read_b32 v67, v68 offset:16
	v_xor_b32_e32 v10, vcc_hi, v9
	v_xor_b32_e32 v11, vcc_lo, v9
	v_and_b32_e32 v9, v8, v10
	v_and_b32_e32 v8, v70, v11
	v_mbcnt_lo_u32_b32 v10, v8, 0
	v_mbcnt_hi_u32_b32 v69, v9, v10
	v_cmp_eq_u32_e32 vcc, 0, v69
	v_cmp_ne_u64_e64 s[48:49], 0, v[8:9]
	s_and_b64 s[48:49], s[48:49], vcc
	; wave barrier
	s_and_saveexec_b64 s[10:11], s[48:49]
	s_cbranch_execz .LBB24_69
; %bb.68:
	v_bcnt_u32_b32 v8, v8, 0
	v_bcnt_u32_b32 v8, v9, v8
	s_waitcnt lgkmcnt(0)
	v_add_u32_e32 v8, v67, v8
	ds_write_b32 v68, v8 offset:16
.LBB24_69:
	s_or_b64 exec, exec, s[10:11]
	v_lshrrev_b32_e32 v8, s8, v24
	v_and_b32_e32 v72, s33, v8
	v_mul_lo_u32 v8, v72, 20
	v_lshl_add_u32 v71, v43, 2, v8
	v_and_b32_e32 v8, 1, v72
	v_mov_b32_e32 v9, 0
	v_lshl_add_u64 v[10:11], v[8:9], 0, -1
	v_cmp_ne_u32_e32 vcc, 0, v8
	; wave barrier
	s_nop 1
	v_xor_b32_e32 v10, vcc_lo, v10
	v_xor_b32_e32 v8, vcc_hi, v11
	v_and_b32_e32 v73, exec_lo, v10
	v_lshlrev_b32_e32 v11, 30, v72
	v_mov_b32_e32 v10, v9
	v_cmp_gt_i64_e32 vcc, 0, v[10:11]
	v_not_b32_e32 v10, v11
	v_ashrrev_i32_e32 v10, 31, v10
	v_and_b32_e32 v8, exec_hi, v8
	v_xor_b32_e32 v11, vcc_hi, v10
	v_xor_b32_e32 v10, vcc_lo, v10
	v_and_b32_e32 v8, v8, v11
	v_and_b32_e32 v73, v73, v10
	v_lshlrev_b32_e32 v11, 29, v72
	v_mov_b32_e32 v10, v9
	v_cmp_gt_i64_e32 vcc, 0, v[10:11]
	v_not_b32_e32 v10, v11
	v_ashrrev_i32_e32 v10, 31, v10
	v_xor_b32_e32 v11, vcc_hi, v10
	v_xor_b32_e32 v10, vcc_lo, v10
	v_and_b32_e32 v8, v8, v11
	v_and_b32_e32 v73, v73, v10
	v_lshlrev_b32_e32 v11, 28, v72
	v_mov_b32_e32 v10, v9
	v_cmp_gt_i64_e32 vcc, 0, v[10:11]
	v_not_b32_e32 v10, v11
	v_ashrrev_i32_e32 v10, 31, v10
	;; [unrolled: 9-line block ×6, first 2 shown]
	v_xor_b32_e32 v11, vcc_hi, v10
	v_xor_b32_e32 v10, vcc_lo, v10
	ds_read_b32 v70, v71 offset:16
	v_and_b32_e32 v10, v73, v10
	v_and_b32_e32 v11, v8, v11
	v_mbcnt_lo_u32_b32 v8, v10, 0
	v_mbcnt_hi_u32_b32 v72, v11, v8
	v_cmp_eq_u32_e32 vcc, 0, v72
	v_cmp_ne_u64_e64 s[48:49], 0, v[10:11]
	s_and_b64 s[48:49], s[48:49], vcc
	; wave barrier
	s_and_saveexec_b64 s[10:11], s[48:49]
	s_cbranch_execz .LBB24_71
; %bb.70:
	v_bcnt_u32_b32 v8, v10, 0
	v_bcnt_u32_b32 v8, v11, v8
	s_waitcnt lgkmcnt(0)
	v_add_u32_e32 v8, v70, v8
	ds_write_b32 v71, v8 offset:16
.LBB24_71:
	s_or_b64 exec, exec, s[10:11]
	v_lshrrev_b32_e32 v8, s8, v23
	v_and_b32_e32 v75, s33, v8
	v_mul_lo_u32 v8, v75, 20
	v_lshl_add_u32 v74, v43, 2, v8
	v_and_b32_e32 v8, 1, v75
	v_lshl_add_u64 v[10:11], v[8:9], 0, -1
	v_cmp_ne_u32_e32 vcc, 0, v8
	; wave barrier
	s_nop 1
	v_xor_b32_e32 v10, vcc_lo, v10
	v_xor_b32_e32 v8, vcc_hi, v11
	v_and_b32_e32 v76, exec_lo, v10
	v_lshlrev_b32_e32 v11, 30, v75
	v_mov_b32_e32 v10, v9
	v_cmp_gt_i64_e32 vcc, 0, v[10:11]
	v_not_b32_e32 v10, v11
	v_ashrrev_i32_e32 v10, 31, v10
	v_and_b32_e32 v8, exec_hi, v8
	v_xor_b32_e32 v11, vcc_hi, v10
	v_xor_b32_e32 v10, vcc_lo, v10
	v_and_b32_e32 v8, v8, v11
	v_and_b32_e32 v76, v76, v10
	v_lshlrev_b32_e32 v11, 29, v75
	v_mov_b32_e32 v10, v9
	v_cmp_gt_i64_e32 vcc, 0, v[10:11]
	v_not_b32_e32 v10, v11
	v_ashrrev_i32_e32 v10, 31, v10
	v_xor_b32_e32 v11, vcc_hi, v10
	v_xor_b32_e32 v10, vcc_lo, v10
	v_and_b32_e32 v8, v8, v11
	v_and_b32_e32 v76, v76, v10
	v_lshlrev_b32_e32 v11, 28, v75
	v_mov_b32_e32 v10, v9
	v_cmp_gt_i64_e32 vcc, 0, v[10:11]
	v_not_b32_e32 v10, v11
	v_ashrrev_i32_e32 v10, 31, v10
	;; [unrolled: 9-line block ×5, first 2 shown]
	v_xor_b32_e32 v11, vcc_hi, v10
	v_xor_b32_e32 v10, vcc_lo, v10
	v_and_b32_e32 v8, v8, v11
	v_lshlrev_b32_e32 v11, 24, v75
	v_and_b32_e32 v76, v76, v10
	v_mov_b32_e32 v10, v9
	v_not_b32_e32 v9, v11
	v_cmp_gt_i64_e32 vcc, 0, v[10:11]
	v_ashrrev_i32_e32 v9, 31, v9
	ds_read_b32 v73, v74 offset:16
	v_xor_b32_e32 v10, vcc_hi, v9
	v_xor_b32_e32 v11, vcc_lo, v9
	v_and_b32_e32 v9, v8, v10
	v_and_b32_e32 v8, v76, v11
	v_mbcnt_lo_u32_b32 v10, v8, 0
	v_mbcnt_hi_u32_b32 v75, v9, v10
	v_cmp_eq_u32_e32 vcc, 0, v75
	v_cmp_ne_u64_e64 s[48:49], 0, v[8:9]
	s_and_b64 s[48:49], s[48:49], vcc
	; wave barrier
	s_and_saveexec_b64 s[10:11], s[48:49]
	s_cbranch_execz .LBB24_73
; %bb.72:
	v_bcnt_u32_b32 v8, v8, 0
	v_bcnt_u32_b32 v8, v9, v8
	s_waitcnt lgkmcnt(0)
	v_add_u32_e32 v8, v73, v8
	ds_write_b32 v74, v8 offset:16
.LBB24_73:
	s_or_b64 exec, exec, s[10:11]
	v_lshrrev_b32_e32 v8, s8, v26
	v_and_b32_e32 v78, s33, v8
	v_mul_lo_u32 v8, v78, 20
	v_lshl_add_u32 v77, v43, 2, v8
	v_and_b32_e32 v8, 1, v78
	v_mov_b32_e32 v9, 0
	v_lshl_add_u64 v[10:11], v[8:9], 0, -1
	v_cmp_ne_u32_e32 vcc, 0, v8
	; wave barrier
	s_nop 1
	v_xor_b32_e32 v10, vcc_lo, v10
	v_xor_b32_e32 v8, vcc_hi, v11
	v_and_b32_e32 v79, exec_lo, v10
	v_lshlrev_b32_e32 v11, 30, v78
	v_mov_b32_e32 v10, v9
	v_cmp_gt_i64_e32 vcc, 0, v[10:11]
	v_not_b32_e32 v10, v11
	v_ashrrev_i32_e32 v10, 31, v10
	v_and_b32_e32 v8, exec_hi, v8
	v_xor_b32_e32 v11, vcc_hi, v10
	v_xor_b32_e32 v10, vcc_lo, v10
	v_and_b32_e32 v8, v8, v11
	v_and_b32_e32 v79, v79, v10
	v_lshlrev_b32_e32 v11, 29, v78
	v_mov_b32_e32 v10, v9
	v_cmp_gt_i64_e32 vcc, 0, v[10:11]
	v_not_b32_e32 v10, v11
	v_ashrrev_i32_e32 v10, 31, v10
	v_xor_b32_e32 v11, vcc_hi, v10
	v_xor_b32_e32 v10, vcc_lo, v10
	v_and_b32_e32 v8, v8, v11
	v_and_b32_e32 v79, v79, v10
	v_lshlrev_b32_e32 v11, 28, v78
	v_mov_b32_e32 v10, v9
	v_cmp_gt_i64_e32 vcc, 0, v[10:11]
	v_not_b32_e32 v10, v11
	v_ashrrev_i32_e32 v10, 31, v10
	;; [unrolled: 9-line block ×6, first 2 shown]
	v_xor_b32_e32 v11, vcc_hi, v10
	v_xor_b32_e32 v10, vcc_lo, v10
	ds_read_b32 v76, v77 offset:16
	v_and_b32_e32 v10, v79, v10
	v_and_b32_e32 v11, v8, v11
	v_mbcnt_lo_u32_b32 v8, v10, 0
	v_mbcnt_hi_u32_b32 v78, v11, v8
	v_cmp_eq_u32_e32 vcc, 0, v78
	v_cmp_ne_u64_e64 s[48:49], 0, v[10:11]
	s_and_b64 s[48:49], s[48:49], vcc
	; wave barrier
	s_and_saveexec_b64 s[10:11], s[48:49]
	s_cbranch_execz .LBB24_75
; %bb.74:
	v_bcnt_u32_b32 v8, v10, 0
	v_bcnt_u32_b32 v8, v11, v8
	s_waitcnt lgkmcnt(0)
	v_add_u32_e32 v8, v76, v8
	ds_write_b32 v77, v8 offset:16
.LBB24_75:
	s_or_b64 exec, exec, s[10:11]
	v_lshrrev_b32_e32 v8, s8, v25
	v_and_b32_e32 v81, s33, v8
	v_mul_lo_u32 v8, v81, 20
	v_lshl_add_u32 v80, v43, 2, v8
	v_and_b32_e32 v8, 1, v81
	v_lshl_add_u64 v[10:11], v[8:9], 0, -1
	v_cmp_ne_u32_e32 vcc, 0, v8
	; wave barrier
	s_nop 1
	v_xor_b32_e32 v10, vcc_lo, v10
	v_xor_b32_e32 v8, vcc_hi, v11
	v_and_b32_e32 v82, exec_lo, v10
	v_lshlrev_b32_e32 v11, 30, v81
	v_mov_b32_e32 v10, v9
	v_cmp_gt_i64_e32 vcc, 0, v[10:11]
	v_not_b32_e32 v10, v11
	v_ashrrev_i32_e32 v10, 31, v10
	v_and_b32_e32 v8, exec_hi, v8
	v_xor_b32_e32 v11, vcc_hi, v10
	v_xor_b32_e32 v10, vcc_lo, v10
	v_and_b32_e32 v8, v8, v11
	v_and_b32_e32 v82, v82, v10
	v_lshlrev_b32_e32 v11, 29, v81
	v_mov_b32_e32 v10, v9
	v_cmp_gt_i64_e32 vcc, 0, v[10:11]
	v_not_b32_e32 v10, v11
	v_ashrrev_i32_e32 v10, 31, v10
	v_xor_b32_e32 v11, vcc_hi, v10
	v_xor_b32_e32 v10, vcc_lo, v10
	v_and_b32_e32 v8, v8, v11
	v_and_b32_e32 v82, v82, v10
	v_lshlrev_b32_e32 v11, 28, v81
	v_mov_b32_e32 v10, v9
	v_cmp_gt_i64_e32 vcc, 0, v[10:11]
	v_not_b32_e32 v10, v11
	v_ashrrev_i32_e32 v10, 31, v10
	;; [unrolled: 9-line block ×5, first 2 shown]
	v_xor_b32_e32 v11, vcc_hi, v10
	v_xor_b32_e32 v10, vcc_lo, v10
	v_and_b32_e32 v8, v8, v11
	v_lshlrev_b32_e32 v11, 24, v81
	v_and_b32_e32 v82, v82, v10
	v_mov_b32_e32 v10, v9
	v_not_b32_e32 v9, v11
	v_cmp_gt_i64_e32 vcc, 0, v[10:11]
	v_ashrrev_i32_e32 v9, 31, v9
	ds_read_b32 v79, v80 offset:16
	v_xor_b32_e32 v10, vcc_hi, v9
	v_xor_b32_e32 v11, vcc_lo, v9
	v_and_b32_e32 v9, v8, v10
	v_and_b32_e32 v8, v82, v11
	v_mbcnt_lo_u32_b32 v10, v8, 0
	v_mbcnt_hi_u32_b32 v81, v9, v10
	v_cmp_eq_u32_e32 vcc, 0, v81
	v_cmp_ne_u64_e64 s[48:49], 0, v[8:9]
	s_and_b64 s[48:49], s[48:49], vcc
	; wave barrier
	s_and_saveexec_b64 s[10:11], s[48:49]
	s_cbranch_execz .LBB24_77
; %bb.76:
	v_bcnt_u32_b32 v8, v8, 0
	v_bcnt_u32_b32 v8, v9, v8
	s_waitcnt lgkmcnt(0)
	v_add_u32_e32 v8, v79, v8
	ds_write_b32 v80, v8 offset:16
.LBB24_77:
	s_or_b64 exec, exec, s[10:11]
	v_lshrrev_b32_e32 v8, s8, v28
	v_and_b32_e32 v84, s33, v8
	v_mul_lo_u32 v8, v84, 20
	v_lshl_add_u32 v83, v43, 2, v8
	v_and_b32_e32 v8, 1, v84
	v_mov_b32_e32 v9, 0
	v_lshl_add_u64 v[10:11], v[8:9], 0, -1
	v_cmp_ne_u32_e32 vcc, 0, v8
	; wave barrier
	s_nop 1
	v_xor_b32_e32 v10, vcc_lo, v10
	v_xor_b32_e32 v8, vcc_hi, v11
	v_and_b32_e32 v85, exec_lo, v10
	v_lshlrev_b32_e32 v11, 30, v84
	v_mov_b32_e32 v10, v9
	v_cmp_gt_i64_e32 vcc, 0, v[10:11]
	v_not_b32_e32 v10, v11
	v_ashrrev_i32_e32 v10, 31, v10
	v_and_b32_e32 v8, exec_hi, v8
	v_xor_b32_e32 v11, vcc_hi, v10
	v_xor_b32_e32 v10, vcc_lo, v10
	v_and_b32_e32 v8, v8, v11
	v_and_b32_e32 v85, v85, v10
	v_lshlrev_b32_e32 v11, 29, v84
	v_mov_b32_e32 v10, v9
	v_cmp_gt_i64_e32 vcc, 0, v[10:11]
	v_not_b32_e32 v10, v11
	v_ashrrev_i32_e32 v10, 31, v10
	v_xor_b32_e32 v11, vcc_hi, v10
	v_xor_b32_e32 v10, vcc_lo, v10
	v_and_b32_e32 v8, v8, v11
	v_and_b32_e32 v85, v85, v10
	v_lshlrev_b32_e32 v11, 28, v84
	v_mov_b32_e32 v10, v9
	v_cmp_gt_i64_e32 vcc, 0, v[10:11]
	v_not_b32_e32 v10, v11
	v_ashrrev_i32_e32 v10, 31, v10
	;; [unrolled: 9-line block ×6, first 2 shown]
	v_xor_b32_e32 v11, vcc_hi, v10
	v_xor_b32_e32 v10, vcc_lo, v10
	ds_read_b32 v82, v83 offset:16
	v_and_b32_e32 v10, v85, v10
	v_and_b32_e32 v11, v8, v11
	v_mbcnt_lo_u32_b32 v8, v10, 0
	v_mbcnt_hi_u32_b32 v84, v11, v8
	v_cmp_eq_u32_e32 vcc, 0, v84
	v_cmp_ne_u64_e64 s[48:49], 0, v[10:11]
	s_and_b64 s[48:49], s[48:49], vcc
	; wave barrier
	s_and_saveexec_b64 s[10:11], s[48:49]
	s_cbranch_execz .LBB24_79
; %bb.78:
	v_bcnt_u32_b32 v8, v10, 0
	v_bcnt_u32_b32 v8, v11, v8
	s_waitcnt lgkmcnt(0)
	v_add_u32_e32 v8, v82, v8
	ds_write_b32 v83, v8 offset:16
.LBB24_79:
	s_or_b64 exec, exec, s[10:11]
	v_lshrrev_b32_e32 v8, s8, v27
	v_and_b32_e32 v87, s33, v8
	v_mul_lo_u32 v8, v87, 20
	v_lshl_add_u32 v86, v43, 2, v8
	v_and_b32_e32 v8, 1, v87
	v_lshl_add_u64 v[10:11], v[8:9], 0, -1
	v_cmp_ne_u32_e32 vcc, 0, v8
	; wave barrier
	s_nop 1
	v_xor_b32_e32 v10, vcc_lo, v10
	v_xor_b32_e32 v8, vcc_hi, v11
	v_and_b32_e32 v88, exec_lo, v10
	v_lshlrev_b32_e32 v11, 30, v87
	v_mov_b32_e32 v10, v9
	v_cmp_gt_i64_e32 vcc, 0, v[10:11]
	v_not_b32_e32 v10, v11
	v_ashrrev_i32_e32 v10, 31, v10
	v_and_b32_e32 v8, exec_hi, v8
	v_xor_b32_e32 v11, vcc_hi, v10
	v_xor_b32_e32 v10, vcc_lo, v10
	v_and_b32_e32 v8, v8, v11
	v_and_b32_e32 v88, v88, v10
	v_lshlrev_b32_e32 v11, 29, v87
	v_mov_b32_e32 v10, v9
	v_cmp_gt_i64_e32 vcc, 0, v[10:11]
	v_not_b32_e32 v10, v11
	v_ashrrev_i32_e32 v10, 31, v10
	v_xor_b32_e32 v11, vcc_hi, v10
	v_xor_b32_e32 v10, vcc_lo, v10
	v_and_b32_e32 v8, v8, v11
	v_and_b32_e32 v88, v88, v10
	v_lshlrev_b32_e32 v11, 28, v87
	v_mov_b32_e32 v10, v9
	v_cmp_gt_i64_e32 vcc, 0, v[10:11]
	v_not_b32_e32 v10, v11
	v_ashrrev_i32_e32 v10, 31, v10
	;; [unrolled: 9-line block ×5, first 2 shown]
	v_xor_b32_e32 v11, vcc_hi, v10
	v_xor_b32_e32 v10, vcc_lo, v10
	v_and_b32_e32 v8, v8, v11
	v_lshlrev_b32_e32 v11, 24, v87
	v_and_b32_e32 v88, v88, v10
	v_mov_b32_e32 v10, v9
	v_not_b32_e32 v9, v11
	v_cmp_gt_i64_e32 vcc, 0, v[10:11]
	v_ashrrev_i32_e32 v9, 31, v9
	ds_read_b32 v85, v86 offset:16
	v_xor_b32_e32 v10, vcc_hi, v9
	v_xor_b32_e32 v11, vcc_lo, v9
	v_and_b32_e32 v9, v8, v10
	v_and_b32_e32 v8, v88, v11
	v_mbcnt_lo_u32_b32 v10, v8, 0
	v_mbcnt_hi_u32_b32 v87, v9, v10
	v_cmp_eq_u32_e32 vcc, 0, v87
	v_cmp_ne_u64_e64 s[48:49], 0, v[8:9]
	s_and_b64 s[48:49], s[48:49], vcc
	; wave barrier
	s_and_saveexec_b64 s[10:11], s[48:49]
	s_cbranch_execz .LBB24_81
; %bb.80:
	v_bcnt_u32_b32 v8, v8, 0
	v_bcnt_u32_b32 v8, v9, v8
	s_waitcnt lgkmcnt(0)
	v_add_u32_e32 v8, v85, v8
	ds_write_b32 v86, v8 offset:16
.LBB24_81:
	s_or_b64 exec, exec, s[10:11]
	v_lshrrev_b32_e32 v8, s8, v30
	v_and_b32_e32 v90, s33, v8
	v_mul_lo_u32 v8, v90, 20
	v_lshl_add_u32 v89, v43, 2, v8
	v_and_b32_e32 v8, 1, v90
	v_mov_b32_e32 v9, 0
	v_lshl_add_u64 v[10:11], v[8:9], 0, -1
	v_cmp_ne_u32_e32 vcc, 0, v8
	; wave barrier
	s_nop 1
	v_xor_b32_e32 v10, vcc_lo, v10
	v_xor_b32_e32 v8, vcc_hi, v11
	v_and_b32_e32 v91, exec_lo, v10
	v_lshlrev_b32_e32 v11, 30, v90
	v_mov_b32_e32 v10, v9
	v_cmp_gt_i64_e32 vcc, 0, v[10:11]
	v_not_b32_e32 v10, v11
	v_ashrrev_i32_e32 v10, 31, v10
	v_and_b32_e32 v8, exec_hi, v8
	v_xor_b32_e32 v11, vcc_hi, v10
	v_xor_b32_e32 v10, vcc_lo, v10
	v_and_b32_e32 v8, v8, v11
	v_and_b32_e32 v91, v91, v10
	v_lshlrev_b32_e32 v11, 29, v90
	v_mov_b32_e32 v10, v9
	v_cmp_gt_i64_e32 vcc, 0, v[10:11]
	v_not_b32_e32 v10, v11
	v_ashrrev_i32_e32 v10, 31, v10
	v_xor_b32_e32 v11, vcc_hi, v10
	v_xor_b32_e32 v10, vcc_lo, v10
	v_and_b32_e32 v8, v8, v11
	v_and_b32_e32 v91, v91, v10
	v_lshlrev_b32_e32 v11, 28, v90
	v_mov_b32_e32 v10, v9
	v_cmp_gt_i64_e32 vcc, 0, v[10:11]
	v_not_b32_e32 v10, v11
	v_ashrrev_i32_e32 v10, 31, v10
	;; [unrolled: 9-line block ×6, first 2 shown]
	v_xor_b32_e32 v11, vcc_hi, v10
	v_xor_b32_e32 v10, vcc_lo, v10
	ds_read_b32 v88, v89 offset:16
	v_and_b32_e32 v10, v91, v10
	v_and_b32_e32 v11, v8, v11
	v_mbcnt_lo_u32_b32 v8, v10, 0
	v_mbcnt_hi_u32_b32 v90, v11, v8
	v_cmp_eq_u32_e32 vcc, 0, v90
	v_cmp_ne_u64_e64 s[48:49], 0, v[10:11]
	s_and_b64 s[48:49], s[48:49], vcc
	; wave barrier
	s_and_saveexec_b64 s[10:11], s[48:49]
	s_cbranch_execz .LBB24_83
; %bb.82:
	v_bcnt_u32_b32 v8, v10, 0
	v_bcnt_u32_b32 v8, v11, v8
	s_waitcnt lgkmcnt(0)
	v_add_u32_e32 v8, v88, v8
	ds_write_b32 v89, v8 offset:16
.LBB24_83:
	s_or_b64 exec, exec, s[10:11]
	v_lshrrev_b32_e32 v8, s8, v29
	v_and_b32_e32 v93, s33, v8
	v_mul_lo_u32 v8, v93, 20
	v_lshl_add_u32 v92, v43, 2, v8
	v_and_b32_e32 v8, 1, v93
	v_lshl_add_u64 v[10:11], v[8:9], 0, -1
	v_cmp_ne_u32_e32 vcc, 0, v8
	; wave barrier
	s_nop 1
	v_xor_b32_e32 v10, vcc_lo, v10
	v_xor_b32_e32 v8, vcc_hi, v11
	v_and_b32_e32 v94, exec_lo, v10
	v_lshlrev_b32_e32 v11, 30, v93
	v_mov_b32_e32 v10, v9
	v_cmp_gt_i64_e32 vcc, 0, v[10:11]
	v_not_b32_e32 v10, v11
	v_ashrrev_i32_e32 v10, 31, v10
	v_and_b32_e32 v8, exec_hi, v8
	v_xor_b32_e32 v11, vcc_hi, v10
	v_xor_b32_e32 v10, vcc_lo, v10
	v_and_b32_e32 v8, v8, v11
	v_and_b32_e32 v94, v94, v10
	v_lshlrev_b32_e32 v11, 29, v93
	v_mov_b32_e32 v10, v9
	v_cmp_gt_i64_e32 vcc, 0, v[10:11]
	v_not_b32_e32 v10, v11
	v_ashrrev_i32_e32 v10, 31, v10
	v_xor_b32_e32 v11, vcc_hi, v10
	v_xor_b32_e32 v10, vcc_lo, v10
	v_and_b32_e32 v8, v8, v11
	v_and_b32_e32 v94, v94, v10
	v_lshlrev_b32_e32 v11, 28, v93
	v_mov_b32_e32 v10, v9
	v_cmp_gt_i64_e32 vcc, 0, v[10:11]
	v_not_b32_e32 v10, v11
	v_ashrrev_i32_e32 v10, 31, v10
	;; [unrolled: 9-line block ×5, first 2 shown]
	v_xor_b32_e32 v11, vcc_hi, v10
	v_xor_b32_e32 v10, vcc_lo, v10
	v_and_b32_e32 v8, v8, v11
	v_lshlrev_b32_e32 v11, 24, v93
	v_and_b32_e32 v94, v94, v10
	v_mov_b32_e32 v10, v9
	v_not_b32_e32 v9, v11
	v_cmp_gt_i64_e32 vcc, 0, v[10:11]
	v_ashrrev_i32_e32 v9, 31, v9
	ds_read_b32 v91, v92 offset:16
	v_xor_b32_e32 v10, vcc_hi, v9
	v_xor_b32_e32 v11, vcc_lo, v9
	v_and_b32_e32 v9, v8, v10
	v_and_b32_e32 v8, v94, v11
	v_mbcnt_lo_u32_b32 v10, v8, 0
	v_mbcnt_hi_u32_b32 v93, v9, v10
	v_cmp_eq_u32_e32 vcc, 0, v93
	v_cmp_ne_u64_e64 s[48:49], 0, v[8:9]
	s_and_b64 s[48:49], s[48:49], vcc
	; wave barrier
	s_and_saveexec_b64 s[10:11], s[48:49]
	s_cbranch_execz .LBB24_85
; %bb.84:
	v_bcnt_u32_b32 v8, v8, 0
	v_bcnt_u32_b32 v8, v9, v8
	s_waitcnt lgkmcnt(0)
	v_add_u32_e32 v8, v91, v8
	ds_write_b32 v92, v8 offset:16
.LBB24_85:
	s_or_b64 exec, exec, s[10:11]
	v_lshrrev_b32_e32 v8, s8, v32
	v_and_b32_e32 v96, s33, v8
	v_mul_lo_u32 v8, v96, 20
	v_lshl_add_u32 v95, v43, 2, v8
	v_and_b32_e32 v8, 1, v96
	v_mov_b32_e32 v9, 0
	v_lshl_add_u64 v[10:11], v[8:9], 0, -1
	v_cmp_ne_u32_e32 vcc, 0, v8
	; wave barrier
	s_nop 1
	v_xor_b32_e32 v10, vcc_lo, v10
	v_xor_b32_e32 v8, vcc_hi, v11
	v_and_b32_e32 v97, exec_lo, v10
	v_lshlrev_b32_e32 v11, 30, v96
	v_mov_b32_e32 v10, v9
	v_cmp_gt_i64_e32 vcc, 0, v[10:11]
	v_not_b32_e32 v10, v11
	v_ashrrev_i32_e32 v10, 31, v10
	v_and_b32_e32 v8, exec_hi, v8
	v_xor_b32_e32 v11, vcc_hi, v10
	v_xor_b32_e32 v10, vcc_lo, v10
	v_and_b32_e32 v8, v8, v11
	v_and_b32_e32 v97, v97, v10
	v_lshlrev_b32_e32 v11, 29, v96
	v_mov_b32_e32 v10, v9
	v_cmp_gt_i64_e32 vcc, 0, v[10:11]
	v_not_b32_e32 v10, v11
	v_ashrrev_i32_e32 v10, 31, v10
	v_xor_b32_e32 v11, vcc_hi, v10
	v_xor_b32_e32 v10, vcc_lo, v10
	v_and_b32_e32 v8, v8, v11
	v_and_b32_e32 v97, v97, v10
	v_lshlrev_b32_e32 v11, 28, v96
	v_mov_b32_e32 v10, v9
	v_cmp_gt_i64_e32 vcc, 0, v[10:11]
	v_not_b32_e32 v10, v11
	v_ashrrev_i32_e32 v10, 31, v10
	;; [unrolled: 9-line block ×6, first 2 shown]
	v_xor_b32_e32 v11, vcc_hi, v10
	v_xor_b32_e32 v10, vcc_lo, v10
	ds_read_b32 v94, v95 offset:16
	v_and_b32_e32 v10, v97, v10
	v_and_b32_e32 v11, v8, v11
	v_mbcnt_lo_u32_b32 v8, v10, 0
	v_mbcnt_hi_u32_b32 v96, v11, v8
	v_cmp_eq_u32_e32 vcc, 0, v96
	v_cmp_ne_u64_e64 s[48:49], 0, v[10:11]
	s_and_b64 s[48:49], s[48:49], vcc
	; wave barrier
	s_and_saveexec_b64 s[10:11], s[48:49]
	s_cbranch_execz .LBB24_87
; %bb.86:
	v_bcnt_u32_b32 v8, v10, 0
	v_bcnt_u32_b32 v8, v11, v8
	s_waitcnt lgkmcnt(0)
	v_add_u32_e32 v8, v94, v8
	ds_write_b32 v95, v8 offset:16
.LBB24_87:
	s_or_b64 exec, exec, s[10:11]
	v_lshrrev_b32_e32 v8, s8, v31
	v_and_b32_e32 v98, s33, v8
	v_mul_lo_u32 v8, v98, 20
	v_lshl_add_u32 v43, v43, 2, v8
	v_and_b32_e32 v8, 1, v98
	v_lshl_add_u64 v[10:11], v[8:9], 0, -1
	v_cmp_ne_u32_e32 vcc, 0, v8
	; wave barrier
	s_nop 1
	v_xor_b32_e32 v10, vcc_lo, v10
	v_xor_b32_e32 v8, vcc_hi, v11
	v_and_b32_e32 v99, exec_lo, v10
	v_lshlrev_b32_e32 v11, 30, v98
	v_mov_b32_e32 v10, v9
	v_cmp_gt_i64_e32 vcc, 0, v[10:11]
	v_not_b32_e32 v10, v11
	v_ashrrev_i32_e32 v10, 31, v10
	v_and_b32_e32 v8, exec_hi, v8
	v_xor_b32_e32 v11, vcc_hi, v10
	v_xor_b32_e32 v10, vcc_lo, v10
	v_and_b32_e32 v8, v8, v11
	v_and_b32_e32 v99, v99, v10
	v_lshlrev_b32_e32 v11, 29, v98
	v_mov_b32_e32 v10, v9
	v_cmp_gt_i64_e32 vcc, 0, v[10:11]
	v_not_b32_e32 v10, v11
	v_ashrrev_i32_e32 v10, 31, v10
	v_xor_b32_e32 v11, vcc_hi, v10
	v_xor_b32_e32 v10, vcc_lo, v10
	v_and_b32_e32 v8, v8, v11
	v_and_b32_e32 v99, v99, v10
	v_lshlrev_b32_e32 v11, 28, v98
	v_mov_b32_e32 v10, v9
	v_cmp_gt_i64_e32 vcc, 0, v[10:11]
	v_not_b32_e32 v10, v11
	v_ashrrev_i32_e32 v10, 31, v10
	;; [unrolled: 9-line block ×5, first 2 shown]
	v_xor_b32_e32 v11, vcc_hi, v10
	v_xor_b32_e32 v10, vcc_lo, v10
	v_and_b32_e32 v8, v8, v11
	v_lshlrev_b32_e32 v11, 24, v98
	v_and_b32_e32 v99, v99, v10
	v_mov_b32_e32 v10, v9
	v_not_b32_e32 v9, v11
	v_cmp_gt_i64_e32 vcc, 0, v[10:11]
	v_ashrrev_i32_e32 v9, 31, v9
	ds_read_b32 v97, v43 offset:16
	v_xor_b32_e32 v10, vcc_hi, v9
	v_xor_b32_e32 v11, vcc_lo, v9
	v_and_b32_e32 v9, v8, v10
	v_and_b32_e32 v8, v99, v11
	v_mbcnt_lo_u32_b32 v10, v8, 0
	v_mbcnt_hi_u32_b32 v98, v9, v10
	v_cmp_eq_u32_e32 vcc, 0, v98
	v_cmp_ne_u64_e64 s[48:49], 0, v[8:9]
	s_and_b64 s[48:49], s[48:49], vcc
	; wave barrier
	s_and_saveexec_b64 s[10:11], s[48:49]
	s_cbranch_execz .LBB24_89
; %bb.88:
	v_bcnt_u32_b32 v8, v8, 0
	v_bcnt_u32_b32 v8, v9, v8
	s_waitcnt lgkmcnt(0)
	v_add_u32_e32 v8, v97, v8
	ds_write_b32 v43, v8 offset:16
.LBB24_89:
	s_or_b64 exec, exec, s[10:11]
	; wave barrier
	s_waitcnt lgkmcnt(0)
	s_barrier
	ds_read2_b32 v[10:11], v33 offset0:4 offset1:5
	ds_read2_b32 v[8:9], v33 offset0:6 offset1:7
	ds_read_b32 v99, v33 offset:32
	v_min_u32_e32 v7, 0xc0, v7
	v_or_b32_e32 v7, 63, v7
	s_waitcnt lgkmcnt(1)
	v_add3_u32 v100, v11, v10, v8
	s_waitcnt lgkmcnt(0)
	v_add3_u32 v99, v100, v9, v99
	v_and_b32_e32 v100, 15, v4
	v_cmp_ne_u32_e32 vcc, 0, v100
	v_mov_b32_dpp v101, v99 row_shr:1 row_mask:0xf bank_mask:0xf
	s_nop 0
	v_cndmask_b32_e32 v101, 0, v101, vcc
	v_add_u32_e32 v99, v101, v99
	v_cmp_lt_u32_e32 vcc, 1, v100
	s_nop 0
	v_mov_b32_dpp v101, v99 row_shr:2 row_mask:0xf bank_mask:0xf
	v_cndmask_b32_e32 v101, 0, v101, vcc
	v_add_u32_e32 v99, v99, v101
	v_cmp_lt_u32_e32 vcc, 3, v100
	s_nop 0
	v_mov_b32_dpp v101, v99 row_shr:4 row_mask:0xf bank_mask:0xf
	;; [unrolled: 5-line block ×3, first 2 shown]
	v_cndmask_b32_e32 v100, 0, v101, vcc
	v_add_u32_e32 v99, v99, v100
	v_bfe_i32 v101, v4, 4, 1
	v_cmp_lt_u32_e32 vcc, 31, v4
	v_mov_b32_dpp v100, v99 row_bcast:15 row_mask:0xf bank_mask:0xf
	v_and_b32_e32 v100, v101, v100
	v_add_u32_e32 v99, v99, v100
	s_nop 1
	v_mov_b32_dpp v100, v99 row_bcast:31 row_mask:0xf bank_mask:0xf
	v_cndmask_b32_e32 v100, 0, v100, vcc
	v_add_u32_e32 v99, v99, v100
	v_lshrrev_b32_e32 v100, 6, v2
	v_cmp_eq_u32_e32 vcc, v2, v7
	s_and_saveexec_b64 s[10:11], vcc
; %bb.90:
	v_lshlrev_b32_e32 v7, 2, v100
	ds_write_b32 v7, v99
; %bb.91:
	s_or_b64 exec, exec, s[10:11]
	v_cmp_gt_u32_e32 vcc, 4, v2
	s_waitcnt lgkmcnt(0)
	s_barrier
	s_and_saveexec_b64 s[10:11], vcc
	s_cbranch_execz .LBB24_93
; %bb.92:
	v_lshlrev_b32_e32 v7, 2, v2
	ds_read_b32 v101, v7
	v_and_b32_e32 v102, 3, v4
	v_cmp_ne_u32_e32 vcc, 0, v102
	s_waitcnt lgkmcnt(0)
	v_mov_b32_dpp v103, v101 row_shr:1 row_mask:0xf bank_mask:0xf
	v_cndmask_b32_e32 v103, 0, v103, vcc
	v_add_u32_e32 v101, v103, v101
	v_cmp_lt_u32_e32 vcc, 1, v102
	s_nop 0
	v_mov_b32_dpp v103, v101 row_shr:2 row_mask:0xf bank_mask:0xf
	v_cndmask_b32_e32 v102, 0, v103, vcc
	v_add_u32_e32 v101, v101, v102
	ds_write_b32 v7, v101
.LBB24_93:
	s_or_b64 exec, exec, s[10:11]
	v_cmp_lt_u32_e32 vcc, 63, v2
	v_mov_b32_e32 v7, 0
	s_waitcnt lgkmcnt(0)
	s_barrier
	s_and_saveexec_b64 s[10:11], vcc
; %bb.94:
	v_lshl_add_u32 v7, v100, 2, -4
	ds_read_b32 v7, v7
; %bb.95:
	s_or_b64 exec, exec, s[10:11]
	v_add_u32_e32 v100, -1, v4
	v_and_b32_e32 v101, 64, v4
	v_cmp_lt_i32_e32 vcc, v100, v101
	s_waitcnt lgkmcnt(0)
	v_add_u32_e32 v99, v7, v99
	s_movk_i32 s4, 0x100
	v_cndmask_b32_e32 v100, v100, v4, vcc
	v_lshlrev_b32_e32 v100, 2, v100
	ds_bpermute_b32 v99, v100, v99
	v_cmp_eq_u32_e32 vcc, 0, v4
	s_waitcnt lgkmcnt(0)
	s_nop 0
	v_cndmask_b32_e32 v7, v99, v7, vcc
	v_cmp_ne_u32_e32 vcc, 0, v2
	s_nop 1
	v_cndmask_b32_e32 v7, 0, v7, vcc
	v_add_u32_e32 v10, v7, v10
	v_add_u32_e32 v11, v10, v11
	;; [unrolled: 1-line block ×4, first 2 shown]
	ds_write2_b32 v33, v7, v10 offset0:4 offset1:5
	ds_write2_b32 v33, v11, v8 offset0:6 offset1:7
	ds_write_b32 v33, v9 offset:32
	s_waitcnt lgkmcnt(0)
	s_barrier
	ds_read_b32 v10, v56 offset:16
	ds_read_b32 v11, v59 offset:16
	;; [unrolled: 1-line block ×23, first 2 shown]
	v_add_u32_e32 v7, 1, v2
	v_cmp_ne_u32_e32 vcc, s4, v7
	v_mov_b32_e32 v9, 0x1600
	s_and_saveexec_b64 s[10:11], vcc
; %bb.96:
	v_mul_u32_u24_e32 v7, 20, v7
	ds_read_b32 v9, v7 offset:16
; %bb.97:
	s_or_b64 exec, exec, s[10:11]
	s_waitcnt lgkmcnt(7)
	v_add_u32_e32 v33, v35, v34
	s_waitcnt lgkmcnt(6)
	v_add3_u32 v34, v38, v36, v37
	s_waitcnt lgkmcnt(5)
	v_add3_u32 v35, v41, v39, v40
	v_add3_u32 v40, v57, v55, v10
	v_lshlrev_b32_e32 v10, 2, v33
	s_waitcnt lgkmcnt(0)
	s_barrier
	ds_write_b32 v10, v12 offset:2048
	v_lshlrev_b32_e32 v10, 2, v34
	v_add3_u32 v36, v45, v42, v43
	ds_write_b32 v10, v3 offset:2048
	v_lshlrev_b32_e32 v3, 2, v35
	v_add3_u32 v37, v48, v46, v44
	;; [unrolled: 3-line block ×4, first 2 shown]
	ds_write_b32 v3, v16 offset:2048
	v_lshlrev_b32_e32 v3, 2, v38
	ds_write_b32 v3, v15 offset:2048
	v_lshlrev_b32_e32 v3, 2, v39
	v_add3_u32 v41, v60, v58, v11
	ds_write_b32 v3, v18 offset:2048
	v_lshlrev_b32_e32 v3, 2, v40
	v_add3_u32 v42, v63, v61, v56
	;; [unrolled: 3-line block ×14, first 2 shown]
	ds_write_b32 v3, v29 offset:2048
	v_lshlrev_b32_e32 v3, 2, v53
	ds_write_b32 v3, v32 offset:2048
	v_lshlrev_b32_e32 v3, 2, v54
	v_sub_u32_e32 v10, v9, v8
	v_lshl_add_u32 v14, s2, 8, v2
	v_mov_b32_e32 v15, 0
	v_mov_b32_e32 v7, v5
	ds_write_b32 v3, v31 offset:2048
	v_lshl_add_u64 v[12:13], v[14:15], 2, s[90:91]
	v_or_b32_e32 v3, 2.0, v10
	s_mov_b64 s[48:49], 0
	s_brev_b32 s52, -4
	s_mov_b32 s53, s3
	v_mov_b32_e32 v9, 0
	s_waitcnt lgkmcnt(0)
	s_barrier
	global_store_dword v[12:13], v3, off sc1
                                        ; implicit-def: $sgpr50_sgpr51
	s_branch .LBB24_100
.LBB24_98:                              ;   in Loop: Header=BB24_100 Depth=1
	s_or_b64 exec, exec, s[10:11]
.LBB24_99:                              ;   in Loop: Header=BB24_100 Depth=1
	s_or_b64 exec, exec, s[50:51]
	v_and_b32_e32 v11, 0x3fffffff, v3
	v_add_u32_e32 v9, v11, v9
	v_cmp_gt_i32_e64 s[50:51], -2.0, v3
	s_and_b64 s[10:11], exec, s[50:51]
	s_or_b64 s[48:49], s[10:11], s[48:49]
	s_andn2_b64 exec, exec, s[48:49]
	s_cbranch_execz .LBB24_105
.LBB24_100:                             ; =>This Loop Header: Depth=1
                                        ;     Child Loop BB24_103 Depth 2
	s_or_b64 s[50:51], s[50:51], exec
	s_cmp_eq_u32 s53, 0
	s_cbranch_scc1 .LBB24_104
; %bb.101:                              ;   in Loop: Header=BB24_100 Depth=1
	s_add_i32 s53, s53, -1
	v_lshl_add_u32 v14, s53, 8, v2
	v_lshl_add_u64 v[16:17], v[14:15], 2, s[90:91]
	global_load_dword v3, v[16:17], off sc1
	s_waitcnt vmcnt(0)
	v_cmp_gt_u32_e32 vcc, 2.0, v3
	s_and_saveexec_b64 s[50:51], vcc
	s_cbranch_execz .LBB24_99
; %bb.102:                              ;   in Loop: Header=BB24_100 Depth=1
	s_mov_b64 s[10:11], 0
.LBB24_103:                             ;   Parent Loop BB24_100 Depth=1
                                        ; =>  This Inner Loop Header: Depth=2
	global_load_dword v3, v[16:17], off sc1
	s_waitcnt vmcnt(0)
	v_cmp_lt_u32_e32 vcc, s52, v3
	s_or_b64 s[10:11], vcc, s[10:11]
	s_andn2_b64 exec, exec, s[10:11]
	s_cbranch_execnz .LBB24_103
	s_branch .LBB24_98
.LBB24_104:                             ;   in Loop: Header=BB24_100 Depth=1
                                        ; implicit-def: $sgpr53
	s_and_b64 s[10:11], exec, s[50:51]
	s_or_b64 s[48:49], s[10:11], s[48:49]
	s_andn2_b64 exec, exec, s[48:49]
	s_cbranch_execnz .LBB24_100
.LBB24_105:
	s_or_b64 exec, exec, s[48:49]
	s_load_dwordx4 s[48:51], s[0:1], 0x28
	v_add_u32_e32 v3, v9, v10
	v_or_b32_e32 v3, 0x80000000, v3
	v_lshlrev_b32_e32 v11, 3, v2
	global_store_dword v[12:13], v3, off sc1
	s_waitcnt lgkmcnt(0)
	global_load_dwordx2 v[12:13], v11, s[48:49]
	v_sub_co_u32_e32 v14, vcc, v9, v8
	v_mov_b32_e32 v3, 0
	s_nop 0
	v_subb_co_u32_e64 v15, s[10:11], 0, 0, vcc
	v_mov_b32_e32 v9, v3
	v_cmp_gt_u32_e32 vcc, s7, v2
	s_waitcnt vmcnt(0)
	v_lshl_add_u64 v[12:13], v[14:15], 0, v[12:13]
	ds_write_b64 v11, v[12:13]
	s_waitcnt lgkmcnt(0)
	s_barrier
	s_and_saveexec_b64 s[48:49], vcc
	s_cbranch_execz .LBB24_107
; %bb.106:
	v_lshlrev_b32_e32 v12, 2, v2
	v_sub_u32_e32 v12, v11, v12
	ds_read_b32 v15, v12 offset:2048
	v_lshlrev_b32_e32 v14, 2, v2
	s_waitcnt lgkmcnt(0)
	v_lshrrev_b32_e32 v12, s8, v15
	v_and_b32_e32 v12, s33, v12
	v_lshlrev_b32_e32 v12, 3, v12
	ds_read_b64 v[12:13], v12
	v_xor_b32_e32 v16, 0x80000000, v15
	v_mov_b32_e32 v15, v3
	s_waitcnt lgkmcnt(0)
	v_lshl_add_u64 v[12:13], v[12:13], 2, s[94:95]
	v_lshl_add_u64 v[12:13], v[12:13], 0, v[14:15]
	global_store_dword v[12:13], v16, off
.LBB24_107:
	s_or_b64 exec, exec, s[48:49]
	v_add_u32_e32 v12, 0x100, v2
	v_cmp_gt_u32_e64 s[48:49], s7, v12
	s_and_saveexec_b64 s[50:51], s[48:49]
	s_cbranch_execz .LBB24_109
; %bb.108:
	v_lshlrev_b32_e32 v12, 2, v2
	v_sub_u32_e32 v12, v11, v12
	ds_read_b32 v15, v12 offset:3072
	v_lshlrev_b32_e32 v14, 2, v2
	s_waitcnt lgkmcnt(0)
	v_lshrrev_b32_e32 v12, s8, v15
	v_and_b32_e32 v12, s33, v12
	v_lshlrev_b32_e32 v12, 3, v12
	ds_read_b64 v[12:13], v12
	v_xor_b32_e32 v16, 0x80000000, v15
	v_mov_b32_e32 v15, 0
	s_waitcnt lgkmcnt(0)
	v_lshl_add_u64 v[12:13], v[12:13], 2, s[94:95]
	v_lshl_add_u64 v[12:13], v[12:13], 0, v[14:15]
	global_store_dword v[12:13], v16, off offset:1024
.LBB24_109:
	s_or_b64 exec, exec, s[50:51]
	v_add_u32_e32 v12, 0x200, v2
	v_cmp_gt_u32_e64 s[50:51], s7, v12
	s_and_saveexec_b64 s[52:53], s[50:51]
	s_cbranch_execz .LBB24_111
; %bb.110:
	v_lshlrev_b32_e32 v12, 2, v2
	v_sub_u32_e32 v12, v11, v12
	ds_read_b32 v15, v12 offset:4096
	v_lshlrev_b32_e32 v14, 2, v2
	s_waitcnt lgkmcnt(0)
	v_lshrrev_b32_e32 v12, s8, v15
	v_and_b32_e32 v12, s33, v12
	v_lshlrev_b32_e32 v12, 3, v12
	ds_read_b64 v[12:13], v12
	v_xor_b32_e32 v16, 0x80000000, v15
	v_mov_b32_e32 v15, 0
	s_waitcnt lgkmcnt(0)
	v_lshl_add_u64 v[12:13], v[12:13], 2, s[94:95]
	v_lshl_add_u64 v[12:13], v[12:13], 0, v[14:15]
	global_store_dword v[12:13], v16, off offset:2048
.LBB24_111:
	;; [unrolled: 22-line block ×3, first 2 shown]
	s_or_b64 exec, exec, s[54:55]
	v_or_b32_e32 v12, 0x400, v2
	v_cmp_gt_u32_e64 s[54:55], s7, v12
	s_and_saveexec_b64 s[56:57], s[54:55]
	s_cbranch_execz .LBB24_115
; %bb.114:
	v_lshlrev_b32_e32 v13, 2, v2
	v_sub_u32_e32 v13, v11, v13
	ds_read_b32 v13, v13 offset:6144
	v_lshlrev_b32_e32 v12, 2, v12
	s_waitcnt lgkmcnt(0)
	v_lshrrev_b32_e32 v14, s8, v13
	v_and_b32_e32 v14, s33, v14
	v_lshlrev_b32_e32 v14, 3, v14
	ds_read_b64 v[14:15], v14
	v_xor_b32_e32 v16, 0x80000000, v13
	v_mov_b32_e32 v13, 0
	s_waitcnt lgkmcnt(0)
	v_lshl_add_u64 v[14:15], v[14:15], 2, s[94:95]
	v_lshl_add_u64 v[12:13], v[14:15], 0, v[12:13]
	global_store_dword v[12:13], v16, off
.LBB24_115:
	s_or_b64 exec, exec, s[56:57]
	v_add_u32_e32 v12, 0x500, v2
	v_cmp_gt_u32_e64 s[56:57], s7, v12
	s_and_saveexec_b64 s[58:59], s[56:57]
	s_cbranch_execz .LBB24_117
; %bb.116:
	v_lshlrev_b32_e32 v13, 2, v2
	v_sub_u32_e32 v13, v11, v13
	ds_read_b32 v13, v13 offset:7168
	v_lshlrev_b32_e32 v12, 2, v12
	s_waitcnt lgkmcnt(0)
	v_lshrrev_b32_e32 v14, s8, v13
	v_and_b32_e32 v14, s33, v14
	v_lshlrev_b32_e32 v14, 3, v14
	ds_read_b64 v[14:15], v14
	v_xor_b32_e32 v16, 0x80000000, v13
	v_mov_b32_e32 v13, 0
	s_waitcnt lgkmcnt(0)
	v_lshl_add_u64 v[14:15], v[14:15], 2, s[94:95]
	v_lshl_add_u64 v[12:13], v[14:15], 0, v[12:13]
	global_store_dword v[12:13], v16, off
.LBB24_117:
	s_or_b64 exec, exec, s[58:59]
	v_add_u32_e32 v12, 0x600, v2
	;; [unrolled: 22-line block ×3, first 2 shown]
	v_cmp_gt_u32_e64 s[60:61], s7, v12
	s_and_saveexec_b64 s[62:63], s[60:61]
	s_cbranch_execz .LBB24_121
; %bb.120:
	v_lshlrev_b32_e32 v13, 2, v2
	ds_read_b32 v13, v13 offset:9216
	v_lshlrev_b32_e32 v12, 2, v12
	s_waitcnt lgkmcnt(0)
	v_lshrrev_b32_e32 v14, s8, v13
	v_and_b32_e32 v14, s33, v14
	v_lshlrev_b32_e32 v14, 3, v14
	ds_read_b64 v[14:15], v14
	v_xor_b32_e32 v16, 0x80000000, v13
	v_mov_b32_e32 v13, 0
	s_waitcnt lgkmcnt(0)
	v_lshl_add_u64 v[14:15], v[14:15], 2, s[94:95]
	v_lshl_add_u64 v[12:13], v[14:15], 0, v[12:13]
	global_store_dword v[12:13], v16, off
.LBB24_121:
	s_or_b64 exec, exec, s[62:63]
	v_or_b32_e32 v12, 0x800, v2
	v_cmp_gt_u32_e64 s[62:63], s7, v12
	s_and_saveexec_b64 s[64:65], s[62:63]
	s_cbranch_execz .LBB24_123
; %bb.122:
	v_lshlrev_b32_e32 v13, 2, v2
	ds_read_b32 v13, v13 offset:10240
	v_lshlrev_b32_e32 v12, 2, v12
	s_waitcnt lgkmcnt(0)
	v_lshrrev_b32_e32 v14, s8, v13
	v_and_b32_e32 v14, s33, v14
	v_lshlrev_b32_e32 v14, 3, v14
	ds_read_b64 v[14:15], v14
	v_xor_b32_e32 v16, 0x80000000, v13
	v_mov_b32_e32 v13, 0
	s_waitcnt lgkmcnt(0)
	v_lshl_add_u64 v[14:15], v[14:15], 2, s[94:95]
	v_lshl_add_u64 v[12:13], v[14:15], 0, v[12:13]
	global_store_dword v[12:13], v16, off
.LBB24_123:
	s_or_b64 exec, exec, s[64:65]
	v_add_u32_e32 v12, 0x900, v2
	v_cmp_gt_u32_e64 s[64:65], s7, v12
	s_and_saveexec_b64 s[66:67], s[64:65]
	s_cbranch_execz .LBB24_125
; %bb.124:
	v_lshlrev_b32_e32 v13, 2, v2
	ds_read_b32 v13, v13 offset:11264
	v_lshlrev_b32_e32 v12, 2, v12
	s_waitcnt lgkmcnt(0)
	v_lshrrev_b32_e32 v14, s8, v13
	v_and_b32_e32 v14, s33, v14
	v_lshlrev_b32_e32 v14, 3, v14
	ds_read_b64 v[14:15], v14
	v_xor_b32_e32 v16, 0x80000000, v13
	v_mov_b32_e32 v13, 0
	s_waitcnt lgkmcnt(0)
	v_lshl_add_u64 v[14:15], v[14:15], 2, s[94:95]
	v_lshl_add_u64 v[12:13], v[14:15], 0, v[12:13]
	global_store_dword v[12:13], v16, off
.LBB24_125:
	s_or_b64 exec, exec, s[66:67]
	v_add_u32_e32 v12, 0xa00, v2
	;; [unrolled: 21-line block ×3, first 2 shown]
	v_cmp_gt_u32_e64 s[68:69], s7, v12
	s_and_saveexec_b64 s[70:71], s[68:69]
	s_cbranch_execz .LBB24_129
; %bb.128:
	v_lshlrev_b32_e32 v13, 2, v2
	ds_read_b32 v13, v13 offset:13312
	v_lshlrev_b32_e32 v12, 2, v12
	s_waitcnt lgkmcnt(0)
	v_lshrrev_b32_e32 v14, s8, v13
	v_and_b32_e32 v14, s33, v14
	v_lshlrev_b32_e32 v14, 3, v14
	ds_read_b64 v[14:15], v14
	v_xor_b32_e32 v16, 0x80000000, v13
	v_mov_b32_e32 v13, 0
	s_waitcnt lgkmcnt(0)
	v_lshl_add_u64 v[14:15], v[14:15], 2, s[94:95]
	v_lshl_add_u64 v[12:13], v[14:15], 0, v[12:13]
	global_store_dword v[12:13], v16, off
.LBB24_129:
	s_or_b64 exec, exec, s[70:71]
	v_or_b32_e32 v12, 0xc00, v2
	v_cmp_gt_u32_e64 s[70:71], s7, v12
	s_and_saveexec_b64 s[72:73], s[70:71]
	s_cbranch_execz .LBB24_131
; %bb.130:
	v_lshlrev_b32_e32 v13, 2, v2
	ds_read_b32 v13, v13 offset:14336
	v_lshlrev_b32_e32 v12, 2, v12
	s_waitcnt lgkmcnt(0)
	v_lshrrev_b32_e32 v14, s8, v13
	v_and_b32_e32 v14, s33, v14
	v_lshlrev_b32_e32 v14, 3, v14
	ds_read_b64 v[14:15], v14
	v_xor_b32_e32 v16, 0x80000000, v13
	v_mov_b32_e32 v13, 0
	s_waitcnt lgkmcnt(0)
	v_lshl_add_u64 v[14:15], v[14:15], 2, s[94:95]
	v_lshl_add_u64 v[12:13], v[14:15], 0, v[12:13]
	global_store_dword v[12:13], v16, off
.LBB24_131:
	s_or_b64 exec, exec, s[72:73]
	v_add_u32_e32 v12, 0xd00, v2
	v_cmp_gt_u32_e64 s[72:73], s7, v12
	s_and_saveexec_b64 s[74:75], s[72:73]
	s_cbranch_execz .LBB24_133
; %bb.132:
	v_lshlrev_b32_e32 v13, 2, v2
	ds_read_b32 v13, v13 offset:15360
	v_lshlrev_b32_e32 v12, 2, v12
	s_waitcnt lgkmcnt(0)
	v_lshrrev_b32_e32 v14, s8, v13
	v_and_b32_e32 v14, s33, v14
	v_lshlrev_b32_e32 v14, 3, v14
	ds_read_b64 v[14:15], v14
	v_xor_b32_e32 v16, 0x80000000, v13
	v_mov_b32_e32 v13, 0
	s_waitcnt lgkmcnt(0)
	v_lshl_add_u64 v[14:15], v[14:15], 2, s[94:95]
	v_lshl_add_u64 v[12:13], v[14:15], 0, v[12:13]
	global_store_dword v[12:13], v16, off
.LBB24_133:
	s_or_b64 exec, exec, s[74:75]
	v_add_u32_e32 v12, 0xe00, v2
	v_cmp_gt_u32_e64 s[74:75], s7, v12
	s_and_saveexec_b64 s[76:77], s[74:75]
	s_cbranch_execz .LBB24_135
; %bb.134:
	v_lshlrev_b32_e32 v13, 2, v2
	ds_read_b32 v13, v13 offset:16384
	v_lshlrev_b32_e32 v12, 2, v12
	s_waitcnt lgkmcnt(0)
	v_lshrrev_b32_e32 v14, s8, v13
	v_and_b32_e32 v14, s33, v14
	v_lshlrev_b32_e32 v14, 3, v14
	ds_read_b64 v[14:15], v14
	v_xor_b32_e32 v16, 0x80000000, v13
	v_mov_b32_e32 v13, 0
	s_waitcnt lgkmcnt(0)
	v_lshl_add_u64 v[14:15], v[14:15], 2, s[94:95]
	v_lshl_add_u64 v[12:13], v[14:15], 0, v[12:13]
	global_store_dword v[12:13], v16, off
.LBB24_135:
	s_or_b64 exec, exec, s[76:77]
	v_add_u32_e32 v12, 0xf00, v2
	v_cmp_gt_u32_e64 s[76:77], s7, v12
	s_and_saveexec_b64 s[78:79], s[76:77]
	s_cbranch_execz .LBB24_137
; %bb.136:
	v_lshlrev_b32_e32 v13, 2, v2
	ds_read_b32 v13, v13 offset:17408
	v_lshlrev_b32_e32 v12, 2, v12
	s_waitcnt lgkmcnt(0)
	v_lshrrev_b32_e32 v14, s8, v13
	v_and_b32_e32 v14, s33, v14
	v_lshlrev_b32_e32 v14, 3, v14
	ds_read_b64 v[14:15], v14
	v_xor_b32_e32 v16, 0x80000000, v13
	v_mov_b32_e32 v13, 0
	s_waitcnt lgkmcnt(0)
	v_lshl_add_u64 v[14:15], v[14:15], 2, s[94:95]
	v_lshl_add_u64 v[12:13], v[14:15], 0, v[12:13]
	global_store_dword v[12:13], v16, off
.LBB24_137:
	s_or_b64 exec, exec, s[78:79]
	v_or_b32_e32 v12, 0x1000, v2
	v_cmp_gt_u32_e64 s[78:79], s7, v12
	s_and_saveexec_b64 s[80:81], s[78:79]
	s_cbranch_execz .LBB24_139
; %bb.138:
	v_lshlrev_b32_e32 v13, 2, v2
	ds_read_b32 v13, v13 offset:18432
	v_lshlrev_b32_e32 v16, 2, v12
	v_mov_b32_e32 v17, 0
	s_waitcnt lgkmcnt(0)
	v_lshrrev_b32_e32 v14, s8, v13
	v_and_b32_e32 v14, s33, v14
	v_lshlrev_b32_e32 v14, 3, v14
	ds_read_b64 v[14:15], v14
	v_xor_b32_e32 v13, 0x80000000, v13
	s_waitcnt lgkmcnt(0)
	v_lshl_add_u64 v[14:15], v[14:15], 2, s[94:95]
	v_lshl_add_u64 v[14:15], v[14:15], 0, v[16:17]
	global_store_dword v[14:15], v13, off
.LBB24_139:
	s_or_b64 exec, exec, s[80:81]
	v_add_u32_e32 v14, 0x1100, v2
	v_cmp_gt_u32_e64 s[80:81], s7, v14
	s_and_saveexec_b64 s[82:83], s[80:81]
	s_cbranch_execz .LBB24_141
; %bb.140:
	v_lshlrev_b32_e32 v13, 2, v2
	ds_read_b32 v13, v13 offset:19456
	v_lshlrev_b32_e32 v18, 2, v14
	v_mov_b32_e32 v19, 0
	s_waitcnt lgkmcnt(0)
	v_lshrrev_b32_e32 v15, s8, v13
	v_and_b32_e32 v15, s33, v15
	v_lshlrev_b32_e32 v15, 3, v15
	ds_read_b64 v[16:17], v15
	v_xor_b32_e32 v13, 0x80000000, v13
	s_waitcnt lgkmcnt(0)
	v_lshl_add_u64 v[16:17], v[16:17], 2, s[94:95]
	v_lshl_add_u64 v[16:17], v[16:17], 0, v[18:19]
	global_store_dword v[16:17], v13, off
.LBB24_141:
	s_or_b64 exec, exec, s[82:83]
	v_add_u32_e32 v16, 0x1200, v2
	;; [unrolled: 21-line block ×3, first 2 shown]
	v_cmp_gt_u32_e64 s[84:85], s7, v18
	s_and_saveexec_b64 s[86:87], s[84:85]
	s_cbranch_execz .LBB24_145
; %bb.144:
	v_lshlrev_b32_e32 v13, 2, v2
	ds_read_b32 v13, v13 offset:21504
	v_lshlrev_b32_e32 v22, 2, v18
	v_mov_b32_e32 v23, 0
	s_waitcnt lgkmcnt(0)
	v_lshrrev_b32_e32 v15, s8, v13
	v_and_b32_e32 v15, s33, v15
	v_lshlrev_b32_e32 v15, 3, v15
	ds_read_b64 v[20:21], v15
	v_xor_b32_e32 v13, 0x80000000, v13
	s_waitcnt lgkmcnt(0)
	v_lshl_add_u64 v[20:21], v[20:21], 2, s[94:95]
	v_lshl_add_u64 v[20:21], v[20:21], 0, v[22:23]
	global_store_dword v[20:21], v13, off
.LBB24_145:
	s_or_b64 exec, exec, s[86:87]
	v_or_b32_e32 v20, 0x1400, v2
	v_cmp_gt_u32_e64 s[86:87], s7, v20
	s_and_saveexec_b64 s[88:89], s[86:87]
	s_cbranch_execz .LBB24_147
; %bb.146:
	v_lshlrev_b32_e32 v13, 2, v2
	ds_read_b32 v13, v13 offset:22528
	v_lshlrev_b32_e32 v24, 2, v20
	v_mov_b32_e32 v25, 0
	s_waitcnt lgkmcnt(0)
	v_lshrrev_b32_e32 v15, s8, v13
	v_and_b32_e32 v15, s33, v15
	v_lshlrev_b32_e32 v15, 3, v15
	ds_read_b64 v[22:23], v15
	v_xor_b32_e32 v13, 0x80000000, v13
	s_waitcnt lgkmcnt(0)
	v_lshl_add_u64 v[22:23], v[22:23], 2, s[94:95]
	v_lshl_add_u64 v[22:23], v[22:23], 0, v[24:25]
	global_store_dword v[22:23], v13, off
.LBB24_147:
	s_or_b64 exec, exec, s[88:89]
	v_add_u32_e32 v22, 0x1500, v2
	v_cmp_gt_u32_e64 s[88:89], s7, v22
	s_and_saveexec_b64 s[10:11], s[88:89]
	s_cbranch_execz .LBB24_149
; %bb.148:
	v_lshlrev_b32_e32 v13, 2, v2
	ds_read_b32 v13, v13 offset:23552
	v_lshlrev_b32_e32 v26, 2, v22
	v_mov_b32_e32 v27, 0
	s_waitcnt lgkmcnt(0)
	v_lshrrev_b32_e32 v15, s8, v13
	v_and_b32_e32 v15, s33, v15
	v_lshlrev_b32_e32 v15, 3, v15
	ds_read_b64 v[24:25], v15
	v_xor_b32_e32 v13, 0x80000000, v13
	s_waitcnt lgkmcnt(0)
	v_lshl_add_u64 v[24:25], v[24:25], 2, s[94:95]
	v_lshl_add_u64 v[24:25], v[24:25], 0, v[26:27]
	global_store_dword v[24:25], v13, off
.LBB24_149:
	s_or_b64 exec, exec, s[10:11]
	s_add_u32 s4, s96, s6
	s_addc_u32 s5, s97, 0
	v_lshl_add_u64 v[4:5], s[4:5], 0, v[4:5]
	v_readlane_b32 s10, v104, 4
	v_lshl_add_u64 v[4:5], v[4:5], 0, v[6:7]
	v_readlane_b32 s11, v104, 5
                                        ; implicit-def: $vgpr58
	s_and_saveexec_b64 s[4:5], s[10:11]
	s_xor_b64 s[10:11], exec, s[4:5]
	s_cbranch_execz .LBB24_151
; %bb.150:
	global_load_ubyte v58, v[4:5], off
.LBB24_151:
	s_or_b64 exec, exec, s[10:11]
                                        ; implicit-def: $vgpr59
	s_mov_b64 s[10:11], exec
	v_readlane_b32 s4, v104, 6
	v_readlane_b32 s5, v104, 7
	s_and_b64 s[4:5], s[10:11], s[4:5]
	s_mov_b64 exec, s[4:5]
	s_cbranch_execz .LBB24_153
; %bb.152:
	global_load_ubyte v59, v[4:5], off offset:64
.LBB24_153:
	s_or_b64 exec, exec, s[10:11]
                                        ; implicit-def: $vgpr60
	s_mov_b64 s[10:11], exec
	v_readlane_b32 s4, v104, 8
	v_readlane_b32 s5, v104, 9
	s_and_b64 s[4:5], s[10:11], s[4:5]
	s_mov_b64 exec, s[4:5]
	s_cbranch_execz .LBB24_155
; %bb.154:
	global_load_ubyte v60, v[4:5], off offset:128
.LBB24_155:
	s_or_b64 exec, exec, s[10:11]
                                        ; implicit-def: $vgpr61
	s_mov_b64 s[10:11], exec
	v_readlane_b32 s4, v104, 10
	v_readlane_b32 s5, v104, 11
	s_and_b64 s[4:5], s[10:11], s[4:5]
	s_mov_b64 exec, s[4:5]
	s_cbranch_execz .LBB24_157
; %bb.156:
	global_load_ubyte v61, v[4:5], off offset:192
.LBB24_157:
	s_or_b64 exec, exec, s[10:11]
                                        ; implicit-def: $vgpr62
	s_mov_b64 s[10:11], exec
	v_readlane_b32 s4, v104, 12
	v_readlane_b32 s5, v104, 13
	s_and_b64 s[4:5], s[10:11], s[4:5]
	s_mov_b64 exec, s[4:5]
	s_cbranch_execz .LBB24_159
; %bb.158:
	global_load_ubyte v62, v[4:5], off offset:256
.LBB24_159:
	s_or_b64 exec, exec, s[10:11]
                                        ; implicit-def: $vgpr63
	s_mov_b64 s[4:5], exec
	v_readlane_b32 s10, v104, 14
	v_readlane_b32 s11, v104, 15
	s_and_b64 s[10:11], s[4:5], s[10:11]
	s_mov_b64 exec, s[10:11]
	s_cbranch_execz .LBB24_243
; %bb.160:
	global_load_ubyte v63, v[4:5], off offset:320
	s_or_b64 exec, exec, s[4:5]
                                        ; implicit-def: $vgpr64
	s_and_saveexec_b64 s[4:5], s[14:15]
	s_cbranch_execnz .LBB24_244
.LBB24_161:
	s_or_b64 exec, exec, s[4:5]
                                        ; implicit-def: $vgpr65
	s_and_saveexec_b64 s[4:5], s[16:17]
	s_cbranch_execz .LBB24_245
.LBB24_162:
	global_load_ubyte v65, v[4:5], off offset:448
	s_or_b64 exec, exec, s[4:5]
                                        ; implicit-def: $vgpr66
	s_and_saveexec_b64 s[4:5], s[18:19]
	s_cbranch_execnz .LBB24_246
.LBB24_163:
	s_or_b64 exec, exec, s[4:5]
                                        ; implicit-def: $vgpr67
	s_and_saveexec_b64 s[4:5], s[20:21]
	s_cbranch_execz .LBB24_247
.LBB24_164:
	global_load_ubyte v67, v[4:5], off offset:576
	s_or_b64 exec, exec, s[4:5]
                                        ; implicit-def: $vgpr68
	s_and_saveexec_b64 s[4:5], s[22:23]
	s_cbranch_execnz .LBB24_248
.LBB24_165:
	s_or_b64 exec, exec, s[4:5]
                                        ; implicit-def: $vgpr69
	s_and_saveexec_b64 s[4:5], s[24:25]
	s_cbranch_execz .LBB24_249
.LBB24_166:
	global_load_ubyte v69, v[4:5], off offset:704
	s_or_b64 exec, exec, s[4:5]
                                        ; implicit-def: $vgpr70
	s_and_saveexec_b64 s[4:5], s[26:27]
	s_cbranch_execnz .LBB24_250
.LBB24_167:
	s_or_b64 exec, exec, s[4:5]
                                        ; implicit-def: $vgpr71
	s_and_saveexec_b64 s[4:5], s[28:29]
	s_cbranch_execz .LBB24_251
.LBB24_168:
	global_load_ubyte v71, v[4:5], off offset:832
	s_or_b64 exec, exec, s[4:5]
                                        ; implicit-def: $vgpr72
	s_and_saveexec_b64 s[4:5], s[30:31]
	s_cbranch_execnz .LBB24_252
.LBB24_169:
	s_or_b64 exec, exec, s[4:5]
                                        ; implicit-def: $vgpr73
	s_and_saveexec_b64 s[4:5], s[34:35]
	s_cbranch_execz .LBB24_253
.LBB24_170:
	global_load_ubyte v73, v[4:5], off offset:960
	s_or_b64 exec, exec, s[4:5]
                                        ; implicit-def: $vgpr74
	s_and_saveexec_b64 s[4:5], s[36:37]
	s_cbranch_execnz .LBB24_254
.LBB24_171:
	s_or_b64 exec, exec, s[4:5]
                                        ; implicit-def: $vgpr75
	s_and_saveexec_b64 s[4:5], s[38:39]
	s_cbranch_execz .LBB24_255
.LBB24_172:
	global_load_ubyte v75, v[4:5], off offset:1088
	s_or_b64 exec, exec, s[4:5]
                                        ; implicit-def: $vgpr76
	s_and_saveexec_b64 s[4:5], s[40:41]
	s_cbranch_execnz .LBB24_256
.LBB24_173:
	s_or_b64 exec, exec, s[4:5]
                                        ; implicit-def: $vgpr77
	s_and_saveexec_b64 s[4:5], s[42:43]
	s_cbranch_execz .LBB24_257
.LBB24_174:
	global_load_ubyte v77, v[4:5], off offset:1216
	s_or_b64 exec, exec, s[4:5]
                                        ; implicit-def: $vgpr78
	s_and_saveexec_b64 s[4:5], s[44:45]
	s_cbranch_execnz .LBB24_258
.LBB24_175:
	s_or_b64 exec, exec, s[4:5]
                                        ; implicit-def: $vgpr79
	s_and_saveexec_b64 s[4:5], s[46:47]
	s_cbranch_execz .LBB24_177
.LBB24_176:
	global_load_ubyte v79, v[4:5], off offset:1344
.LBB24_177:
	s_or_b64 exec, exec, s[4:5]
	v_mov_b32_e32 v6, 0
	v_mov_b32_e32 v27, 0
	s_and_saveexec_b64 s[4:5], vcc
	s_cbranch_execz .LBB24_179
; %bb.178:
	v_lshlrev_b32_e32 v4, 2, v2
	ds_read_b32 v4, v4 offset:2048
	s_waitcnt lgkmcnt(0)
	v_lshrrev_b32_e32 v4, s8, v4
	v_and_b32_e32 v27, s33, v4
.LBB24_179:
	s_or_b64 exec, exec, s[4:5]
	s_and_saveexec_b64 s[4:5], s[48:49]
	s_cbranch_execz .LBB24_181
; %bb.180:
	v_lshlrev_b32_e32 v4, 2, v2
	ds_read_b32 v4, v4 offset:3072
	s_waitcnt lgkmcnt(0)
	v_lshrrev_b32_e32 v4, s8, v4
	v_and_b32_e32 v6, s33, v4
.LBB24_181:
	s_or_b64 exec, exec, s[4:5]
	v_mov_b32_e32 v7, 0
	v_mov_b32_e32 v28, 0
	s_and_saveexec_b64 s[4:5], s[50:51]
	s_cbranch_execz .LBB24_183
; %bb.182:
	v_lshlrev_b32_e32 v4, 2, v2
	ds_read_b32 v4, v4 offset:4096
	s_waitcnt lgkmcnt(0)
	v_lshrrev_b32_e32 v4, s8, v4
	v_and_b32_e32 v28, s33, v4
.LBB24_183:
	s_or_b64 exec, exec, s[4:5]
	s_and_saveexec_b64 s[4:5], s[52:53]
	s_cbranch_execz .LBB24_185
; %bb.184:
	v_lshlrev_b32_e32 v4, 2, v2
	ds_read_b32 v4, v4 offset:5120
	s_waitcnt lgkmcnt(0)
	v_lshrrev_b32_e32 v4, s8, v4
	v_and_b32_e32 v7, s33, v4
.LBB24_185:
	s_or_b64 exec, exec, s[4:5]
	v_mov_b32_e32 v13, 0
	v_mov_b32_e32 v29, 0
	s_and_saveexec_b64 s[4:5], s[54:55]
	s_cbranch_execz .LBB24_187
; %bb.186:
	v_lshlrev_b32_e32 v4, 2, v2
	ds_read_b32 v4, v4 offset:6144
	s_waitcnt lgkmcnt(0)
	v_lshrrev_b32_e32 v4, s8, v4
	v_and_b32_e32 v29, s33, v4
.LBB24_187:
	s_or_b64 exec, exec, s[4:5]
	s_and_saveexec_b64 s[4:5], s[56:57]
	s_cbranch_execz .LBB24_189
; %bb.188:
	v_lshlrev_b32_e32 v4, 2, v2
	ds_read_b32 v4, v4 offset:7168
	s_waitcnt lgkmcnt(0)
	v_lshrrev_b32_e32 v4, s8, v4
	v_and_b32_e32 v13, s33, v4
.LBB24_189:
	s_or_b64 exec, exec, s[4:5]
	v_mov_b32_e32 v17, 0
	v_mov_b32_e32 v30, 0
	s_and_saveexec_b64 s[4:5], s[58:59]
	s_cbranch_execz .LBB24_191
; %bb.190:
	v_lshlrev_b32_e32 v4, 2, v2
	ds_read_b32 v4, v4 offset:8192
	s_waitcnt lgkmcnt(0)
	v_lshrrev_b32_e32 v4, s8, v4
	v_and_b32_e32 v30, s33, v4
.LBB24_191:
	s_or_b64 exec, exec, s[4:5]
	s_and_saveexec_b64 s[4:5], s[60:61]
	s_cbranch_execz .LBB24_193
; %bb.192:
	v_lshlrev_b32_e32 v4, 2, v2
	ds_read_b32 v4, v4 offset:9216
	s_waitcnt lgkmcnt(0)
	v_lshrrev_b32_e32 v4, s8, v4
	v_and_b32_e32 v17, s33, v4
.LBB24_193:
	s_or_b64 exec, exec, s[4:5]
	v_mov_b32_e32 v19, 0
	v_mov_b32_e32 v31, 0
	s_and_saveexec_b64 s[4:5], s[62:63]
	s_cbranch_execz .LBB24_195
; %bb.194:
	v_lshlrev_b32_e32 v4, 2, v2
	ds_read_b32 v4, v4 offset:10240
	s_waitcnt lgkmcnt(0)
	v_lshrrev_b32_e32 v4, s8, v4
	v_and_b32_e32 v31, s33, v4
.LBB24_195:
	s_or_b64 exec, exec, s[4:5]
	s_and_saveexec_b64 s[4:5], s[64:65]
	s_cbranch_execz .LBB24_197
; %bb.196:
	v_lshlrev_b32_e32 v4, 2, v2
	ds_read_b32 v4, v4 offset:11264
	s_waitcnt lgkmcnt(0)
	v_lshrrev_b32_e32 v4, s8, v4
	v_and_b32_e32 v19, s33, v4
.LBB24_197:
	s_or_b64 exec, exec, s[4:5]
	v_mov_b32_e32 v21, 0
	v_mov_b32_e32 v32, 0
	s_and_saveexec_b64 s[4:5], s[66:67]
	s_cbranch_execz .LBB24_199
; %bb.198:
	v_lshlrev_b32_e32 v4, 2, v2
	ds_read_b32 v4, v4 offset:12288
	s_waitcnt lgkmcnt(0)
	v_lshrrev_b32_e32 v4, s8, v4
	v_and_b32_e32 v32, s33, v4
.LBB24_199:
	s_or_b64 exec, exec, s[4:5]
	s_and_saveexec_b64 s[4:5], s[68:69]
	s_cbranch_execz .LBB24_201
; %bb.200:
	v_lshlrev_b32_e32 v4, 2, v2
	ds_read_b32 v4, v4 offset:13312
	s_waitcnt lgkmcnt(0)
	v_lshrrev_b32_e32 v4, s8, v4
	v_and_b32_e32 v21, s33, v4
.LBB24_201:
	s_or_b64 exec, exec, s[4:5]
	v_mov_b32_e32 v23, 0
	v_mov_b32_e32 v56, 0
	s_and_saveexec_b64 s[4:5], s[70:71]
	s_cbranch_execz .LBB24_203
; %bb.202:
	v_lshlrev_b32_e32 v4, 2, v2
	ds_read_b32 v4, v4 offset:14336
	s_waitcnt lgkmcnt(0)
	v_lshrrev_b32_e32 v4, s8, v4
	v_and_b32_e32 v56, s33, v4
.LBB24_203:
	s_or_b64 exec, exec, s[4:5]
	s_and_saveexec_b64 s[4:5], s[72:73]
	s_cbranch_execz .LBB24_205
; %bb.204:
	v_lshlrev_b32_e32 v4, 2, v2
	ds_read_b32 v4, v4 offset:15360
	s_waitcnt lgkmcnt(0)
	v_lshrrev_b32_e32 v4, s8, v4
	v_and_b32_e32 v23, s33, v4
.LBB24_205:
	s_or_b64 exec, exec, s[4:5]
	v_mov_b32_e32 v24, 0
	v_mov_b32_e32 v57, 0
	s_and_saveexec_b64 s[4:5], s[74:75]
	s_cbranch_execz .LBB24_207
; %bb.206:
	v_lshlrev_b32_e32 v4, 2, v2
	ds_read_b32 v4, v4 offset:16384
	s_waitcnt lgkmcnt(0)
	v_lshrrev_b32_e32 v4, s8, v4
	v_and_b32_e32 v57, s33, v4
.LBB24_207:
	s_or_b64 exec, exec, s[4:5]
	s_and_saveexec_b64 s[4:5], s[76:77]
	s_cbranch_execz .LBB24_209
; %bb.208:
	v_lshlrev_b32_e32 v4, 2, v2
	ds_read_b32 v4, v4 offset:17408
	s_waitcnt lgkmcnt(0)
	v_lshrrev_b32_e32 v4, s8, v4
	v_and_b32_e32 v24, s33, v4
.LBB24_209:
	s_or_b64 exec, exec, s[4:5]
	v_mov_b32_e32 v15, 0
	v_mov_b32_e32 v55, 0
	s_and_saveexec_b64 s[4:5], s[78:79]
	s_cbranch_execz .LBB24_211
; %bb.210:
	v_lshlrev_b32_e32 v4, 2, v2
	ds_read_b32 v4, v4 offset:18432
	s_waitcnt lgkmcnt(0)
	v_lshrrev_b32_e32 v4, s8, v4
	v_and_b32_e32 v55, s33, v4
.LBB24_211:
	s_or_b64 exec, exec, s[4:5]
	s_and_saveexec_b64 s[4:5], s[80:81]
	s_cbranch_execz .LBB24_213
; %bb.212:
	v_lshlrev_b32_e32 v4, 2, v2
	ds_read_b32 v4, v4 offset:19456
	s_waitcnt lgkmcnt(0)
	v_lshrrev_b32_e32 v4, s8, v4
	v_and_b32_e32 v15, s33, v4
.LBB24_213:
	s_or_b64 exec, exec, s[4:5]
	v_mov_b32_e32 v5, 0
	v_mov_b32_e32 v26, 0
	s_and_saveexec_b64 s[4:5], s[82:83]
	s_cbranch_execz .LBB24_215
; %bb.214:
	v_lshlrev_b32_e32 v4, 2, v2
	ds_read_b32 v4, v4 offset:20480
	s_waitcnt lgkmcnt(0)
	v_lshrrev_b32_e32 v4, s8, v4
	v_and_b32_e32 v26, s33, v4
.LBB24_215:
	s_or_b64 exec, exec, s[4:5]
	s_and_saveexec_b64 s[4:5], s[84:85]
	s_cbranch_execz .LBB24_217
; %bb.216:
	v_lshlrev_b32_e32 v4, 2, v2
	ds_read_b32 v4, v4 offset:21504
	s_waitcnt lgkmcnt(0)
	v_lshrrev_b32_e32 v4, s8, v4
	v_and_b32_e32 v5, s33, v4
.LBB24_217:
	s_or_b64 exec, exec, s[4:5]
	v_mov_b32_e32 v4, 0
	v_mov_b32_e32 v25, 0
	s_and_saveexec_b64 s[4:5], s[86:87]
	s_cbranch_execz .LBB24_219
; %bb.218:
	v_lshlrev_b32_e32 v25, 2, v2
	ds_read_b32 v25, v25 offset:22528
	s_waitcnt lgkmcnt(0)
	v_lshrrev_b32_e32 v25, s8, v25
	v_and_b32_e32 v25, s33, v25
.LBB24_219:
	s_or_b64 exec, exec, s[4:5]
	s_and_saveexec_b64 s[4:5], s[88:89]
	s_cbranch_execz .LBB24_221
; %bb.220:
	v_lshlrev_b32_e32 v4, 2, v2
	ds_read_b32 v4, v4 offset:23552
	s_waitcnt lgkmcnt(0)
	v_lshrrev_b32_e32 v4, s8, v4
	v_and_b32_e32 v4, s33, v4
.LBB24_221:
	s_or_b64 exec, exec, s[4:5]
	s_barrier
	s_waitcnt vmcnt(0)
	ds_write_b8 v33, v58 offset:2048
	ds_write_b8 v34, v59 offset:2048
	;; [unrolled: 1-line block ×22, first 2 shown]
	s_waitcnt lgkmcnt(0)
	s_barrier
	s_and_saveexec_b64 s[4:5], vcc
	s_cbranch_execz .LBB24_259
; %bb.222:
	v_lshlrev_b32_e32 v27, 3, v27
	ds_read_b64 v[34:35], v27
	ds_read_u8 v27, v2 offset:2048
	s_waitcnt lgkmcnt(1)
	v_lshl_add_u64 v[34:35], s[98:99], 0, v[34:35]
	v_lshl_add_u64 v[34:35], v[34:35], 0, v[2:3]
	s_waitcnt lgkmcnt(0)
	global_store_byte v[34:35], v27, off
	s_or_b64 exec, exec, s[4:5]
	s_and_saveexec_b64 s[4:5], s[48:49]
	s_cbranch_execnz .LBB24_260
.LBB24_223:
	s_or_b64 exec, exec, s[4:5]
	s_and_saveexec_b64 s[4:5], s[50:51]
	s_cbranch_execz .LBB24_261
.LBB24_224:
	v_lshlrev_b32_e32 v6, 3, v28
	ds_read_b64 v[34:35], v6
	ds_read_u8 v6, v2 offset:2560
	s_waitcnt lgkmcnt(1)
	v_lshl_add_u64 v[34:35], s[98:99], 0, v[34:35]
	v_lshl_add_u64 v[34:35], v[34:35], 0, v[2:3]
	s_waitcnt lgkmcnt(0)
	global_store_byte v[34:35], v6, off offset:512
	s_or_b64 exec, exec, s[4:5]
	s_and_saveexec_b64 s[4:5], s[52:53]
	s_cbranch_execnz .LBB24_262
.LBB24_225:
	s_or_b64 exec, exec, s[4:5]
	s_and_saveexec_b64 s[4:5], s[54:55]
	s_cbranch_execz .LBB24_263
.LBB24_226:
	v_lshlrev_b32_e32 v6, 3, v29
	ds_read_b64 v[6:7], v6
	ds_read_u8 v27, v2 offset:3072
	s_waitcnt lgkmcnt(1)
	v_lshl_add_u64 v[6:7], s[98:99], 0, v[6:7]
	v_lshl_add_u64 v[6:7], v[6:7], 0, v[2:3]
	s_waitcnt lgkmcnt(0)
	global_store_byte v[6:7], v27, off offset:1024
	s_or_b64 exec, exec, s[4:5]
	s_and_saveexec_b64 s[4:5], s[56:57]
	s_cbranch_execnz .LBB24_264
.LBB24_227:
	s_or_b64 exec, exec, s[4:5]
	s_and_saveexec_b64 s[4:5], s[58:59]
	s_cbranch_execz .LBB24_265
.LBB24_228:
	v_lshlrev_b32_e32 v6, 3, v30
	ds_read_b64 v[6:7], v6
	ds_read_u8 v13, v2 offset:3584
	s_waitcnt lgkmcnt(1)
	v_lshl_add_u64 v[6:7], s[98:99], 0, v[6:7]
	v_lshl_add_u64 v[6:7], v[6:7], 0, v[2:3]
	s_waitcnt lgkmcnt(0)
	global_store_byte v[6:7], v13, off offset:1536
	s_or_b64 exec, exec, s[4:5]
	s_and_saveexec_b64 s[4:5], s[60:61]
	s_cbranch_execnz .LBB24_266
.LBB24_229:
	s_or_b64 exec, exec, s[4:5]
	s_and_saveexec_b64 s[4:5], s[62:63]
	s_cbranch_execz .LBB24_267
.LBB24_230:
	v_lshlrev_b32_e32 v6, 3, v31
	ds_read_b64 v[6:7], v6
	ds_read_u8 v13, v2 offset:4096
	s_waitcnt lgkmcnt(1)
	v_lshl_add_u64 v[6:7], s[98:99], 0, v[6:7]
	v_lshl_add_u64 v[6:7], v[6:7], 0, v[2:3]
	s_waitcnt lgkmcnt(0)
	global_store_byte v[6:7], v13, off offset:2048
	s_or_b64 exec, exec, s[4:5]
	s_and_saveexec_b64 s[4:5], s[64:65]
	s_cbranch_execnz .LBB24_268
.LBB24_231:
	s_or_b64 exec, exec, s[4:5]
	s_and_saveexec_b64 s[4:5], s[66:67]
	s_cbranch_execz .LBB24_269
.LBB24_232:
	v_lshlrev_b32_e32 v6, 3, v32
	ds_read_b64 v[6:7], v6
	ds_read_u8 v13, v2 offset:4608
	s_waitcnt lgkmcnt(1)
	v_lshl_add_u64 v[6:7], s[98:99], 0, v[6:7]
	v_lshl_add_u64 v[6:7], v[6:7], 0, v[2:3]
	s_waitcnt lgkmcnt(0)
	global_store_byte v[6:7], v13, off offset:2560
	s_or_b64 exec, exec, s[4:5]
	s_and_saveexec_b64 s[4:5], s[68:69]
	s_cbranch_execnz .LBB24_270
.LBB24_233:
	s_or_b64 exec, exec, s[4:5]
	s_and_saveexec_b64 s[4:5], s[70:71]
	s_cbranch_execz .LBB24_271
.LBB24_234:
	v_lshlrev_b32_e32 v6, 3, v56
	ds_read_b64 v[6:7], v6
	ds_read_u8 v13, v2 offset:5120
	s_waitcnt lgkmcnt(1)
	v_lshl_add_u64 v[6:7], s[98:99], 0, v[6:7]
	v_lshl_add_u64 v[6:7], v[6:7], 0, v[2:3]
	s_waitcnt lgkmcnt(0)
	global_store_byte v[6:7], v13, off offset:3072
	s_or_b64 exec, exec, s[4:5]
	s_and_saveexec_b64 s[4:5], s[72:73]
	s_cbranch_execnz .LBB24_272
.LBB24_235:
	s_or_b64 exec, exec, s[4:5]
	s_and_saveexec_b64 s[4:5], s[74:75]
	s_cbranch_execz .LBB24_273
.LBB24_236:
	v_lshlrev_b32_e32 v6, 3, v57
	ds_read_b64 v[6:7], v6
	ds_read_u8 v13, v2 offset:5632
	s_waitcnt lgkmcnt(1)
	v_lshl_add_u64 v[6:7], s[98:99], 0, v[6:7]
	v_lshl_add_u64 v[6:7], v[6:7], 0, v[2:3]
	s_waitcnt lgkmcnt(0)
	global_store_byte v[6:7], v13, off offset:3584
	s_or_b64 exec, exec, s[4:5]
	s_and_saveexec_b64 s[4:5], s[76:77]
	s_cbranch_execnz .LBB24_274
.LBB24_237:
	s_or_b64 exec, exec, s[4:5]
	s_and_saveexec_b64 s[4:5], s[78:79]
	s_cbranch_execz .LBB24_275
.LBB24_238:
	v_lshlrev_b32_e32 v3, 3, v55
	ds_read_b64 v[6:7], v3
	ds_read_u8 v3, v2 offset:6144
	v_mov_b32_e32 v13, 0
	s_waitcnt lgkmcnt(1)
	v_lshl_add_u64 v[6:7], s[98:99], 0, v[6:7]
	v_lshl_add_u64 v[6:7], v[6:7], 0, v[12:13]
	s_waitcnt lgkmcnt(0)
	global_store_byte v[6:7], v3, off
	s_or_b64 exec, exec, s[4:5]
	s_and_saveexec_b64 s[4:5], s[80:81]
	s_cbranch_execnz .LBB24_276
.LBB24_239:
	s_or_b64 exec, exec, s[4:5]
	s_and_saveexec_b64 s[4:5], s[82:83]
	s_cbranch_execz .LBB24_277
.LBB24_240:
	v_lshlrev_b32_e32 v3, 3, v26
	ds_read_b64 v[6:7], v3
	ds_read_u8 v3, v2 offset:6656
	v_mov_b32_e32 v17, 0
	s_waitcnt lgkmcnt(1)
	v_lshl_add_u64 v[6:7], s[98:99], 0, v[6:7]
	v_lshl_add_u64 v[6:7], v[6:7], 0, v[16:17]
	s_waitcnt lgkmcnt(0)
	global_store_byte v[6:7], v3, off
	s_or_b64 exec, exec, s[4:5]
	s_and_saveexec_b64 s[4:5], s[84:85]
	s_cbranch_execnz .LBB24_278
.LBB24_241:
	s_or_b64 exec, exec, s[4:5]
	s_and_saveexec_b64 s[4:5], s[86:87]
	s_cbranch_execz .LBB24_279
.LBB24_242:
	v_lshlrev_b32_e32 v3, 3, v25
	ds_read_b64 v[6:7], v3
	ds_read_u8 v3, v2 offset:7168
	v_mov_b32_e32 v21, 0
	s_waitcnt lgkmcnt(1)
	v_lshl_add_u64 v[6:7], s[98:99], 0, v[6:7]
	v_lshl_add_u64 v[6:7], v[6:7], 0, v[20:21]
	s_waitcnt lgkmcnt(0)
	global_store_byte v[6:7], v3, off
	s_or_b64 exec, exec, s[4:5]
	s_and_saveexec_b64 s[4:5], s[88:89]
	s_cbranch_execnz .LBB24_280
	s_branch .LBB24_281
.LBB24_243:
	s_or_b64 exec, exec, s[4:5]
                                        ; implicit-def: $vgpr64
	s_and_saveexec_b64 s[4:5], s[14:15]
	s_cbranch_execz .LBB24_161
.LBB24_244:
	global_load_ubyte v64, v[4:5], off offset:384
	s_or_b64 exec, exec, s[4:5]
                                        ; implicit-def: $vgpr65
	s_and_saveexec_b64 s[4:5], s[16:17]
	s_cbranch_execnz .LBB24_162
.LBB24_245:
	s_or_b64 exec, exec, s[4:5]
                                        ; implicit-def: $vgpr66
	s_and_saveexec_b64 s[4:5], s[18:19]
	s_cbranch_execz .LBB24_163
.LBB24_246:
	global_load_ubyte v66, v[4:5], off offset:512
	s_or_b64 exec, exec, s[4:5]
                                        ; implicit-def: $vgpr67
	s_and_saveexec_b64 s[4:5], s[20:21]
	s_cbranch_execnz .LBB24_164
.LBB24_247:
	s_or_b64 exec, exec, s[4:5]
                                        ; implicit-def: $vgpr68
	s_and_saveexec_b64 s[4:5], s[22:23]
	s_cbranch_execz .LBB24_165
.LBB24_248:
	global_load_ubyte v68, v[4:5], off offset:640
	s_or_b64 exec, exec, s[4:5]
                                        ; implicit-def: $vgpr69
	s_and_saveexec_b64 s[4:5], s[24:25]
	s_cbranch_execnz .LBB24_166
.LBB24_249:
	s_or_b64 exec, exec, s[4:5]
                                        ; implicit-def: $vgpr70
	s_and_saveexec_b64 s[4:5], s[26:27]
	s_cbranch_execz .LBB24_167
.LBB24_250:
	global_load_ubyte v70, v[4:5], off offset:768
	s_or_b64 exec, exec, s[4:5]
                                        ; implicit-def: $vgpr71
	s_and_saveexec_b64 s[4:5], s[28:29]
	s_cbranch_execnz .LBB24_168
.LBB24_251:
	s_or_b64 exec, exec, s[4:5]
                                        ; implicit-def: $vgpr72
	s_and_saveexec_b64 s[4:5], s[30:31]
	s_cbranch_execz .LBB24_169
.LBB24_252:
	global_load_ubyte v72, v[4:5], off offset:896
	s_or_b64 exec, exec, s[4:5]
                                        ; implicit-def: $vgpr73
	s_and_saveexec_b64 s[4:5], s[34:35]
	s_cbranch_execnz .LBB24_170
.LBB24_253:
	s_or_b64 exec, exec, s[4:5]
                                        ; implicit-def: $vgpr74
	s_and_saveexec_b64 s[4:5], s[36:37]
	s_cbranch_execz .LBB24_171
.LBB24_254:
	global_load_ubyte v74, v[4:5], off offset:1024
	s_or_b64 exec, exec, s[4:5]
                                        ; implicit-def: $vgpr75
	s_and_saveexec_b64 s[4:5], s[38:39]
	s_cbranch_execnz .LBB24_172
.LBB24_255:
	s_or_b64 exec, exec, s[4:5]
                                        ; implicit-def: $vgpr76
	s_and_saveexec_b64 s[4:5], s[40:41]
	s_cbranch_execz .LBB24_173
.LBB24_256:
	global_load_ubyte v76, v[4:5], off offset:1152
	s_or_b64 exec, exec, s[4:5]
                                        ; implicit-def: $vgpr77
	s_and_saveexec_b64 s[4:5], s[42:43]
	s_cbranch_execnz .LBB24_174
.LBB24_257:
	s_or_b64 exec, exec, s[4:5]
                                        ; implicit-def: $vgpr78
	s_and_saveexec_b64 s[4:5], s[44:45]
	s_cbranch_execz .LBB24_175
.LBB24_258:
	global_load_ubyte v78, v[4:5], off offset:1280
	s_or_b64 exec, exec, s[4:5]
                                        ; implicit-def: $vgpr79
	s_and_saveexec_b64 s[4:5], s[46:47]
	s_cbranch_execnz .LBB24_176
	s_branch .LBB24_177
.LBB24_259:
	s_or_b64 exec, exec, s[4:5]
	s_and_saveexec_b64 s[4:5], s[48:49]
	s_cbranch_execz .LBB24_223
.LBB24_260:
	v_lshlrev_b32_e32 v6, 3, v6
	ds_read_b64 v[34:35], v6
	ds_read_u8 v6, v2 offset:2304
	s_waitcnt lgkmcnt(1)
	v_lshl_add_u64 v[34:35], s[98:99], 0, v[34:35]
	v_lshl_add_u64 v[34:35], v[34:35], 0, v[2:3]
	s_waitcnt lgkmcnt(0)
	global_store_byte v[34:35], v6, off offset:256
	s_or_b64 exec, exec, s[4:5]
	s_and_saveexec_b64 s[4:5], s[50:51]
	s_cbranch_execnz .LBB24_224
.LBB24_261:
	s_or_b64 exec, exec, s[4:5]
	s_and_saveexec_b64 s[4:5], s[52:53]
	s_cbranch_execz .LBB24_225
.LBB24_262:
	v_lshlrev_b32_e32 v6, 3, v7
	ds_read_b64 v[6:7], v6
	ds_read_u8 v27, v2 offset:2816
	s_waitcnt lgkmcnt(1)
	v_lshl_add_u64 v[6:7], s[98:99], 0, v[6:7]
	v_lshl_add_u64 v[6:7], v[6:7], 0, v[2:3]
	s_waitcnt lgkmcnt(0)
	global_store_byte v[6:7], v27, off offset:768
	s_or_b64 exec, exec, s[4:5]
	s_and_saveexec_b64 s[4:5], s[54:55]
	s_cbranch_execnz .LBB24_226
.LBB24_263:
	s_or_b64 exec, exec, s[4:5]
	s_and_saveexec_b64 s[4:5], s[56:57]
	s_cbranch_execz .LBB24_227
.LBB24_264:
	v_lshlrev_b32_e32 v6, 3, v13
	ds_read_b64 v[6:7], v6
	ds_read_u8 v13, v2 offset:3328
	s_waitcnt lgkmcnt(1)
	v_lshl_add_u64 v[6:7], s[98:99], 0, v[6:7]
	v_lshl_add_u64 v[6:7], v[6:7], 0, v[2:3]
	s_waitcnt lgkmcnt(0)
	global_store_byte v[6:7], v13, off offset:1280
	s_or_b64 exec, exec, s[4:5]
	s_and_saveexec_b64 s[4:5], s[58:59]
	s_cbranch_execnz .LBB24_228
.LBB24_265:
	s_or_b64 exec, exec, s[4:5]
	s_and_saveexec_b64 s[4:5], s[60:61]
	s_cbranch_execz .LBB24_229
.LBB24_266:
	v_lshlrev_b32_e32 v6, 3, v17
	ds_read_b64 v[6:7], v6
	ds_read_u8 v13, v2 offset:3840
	s_waitcnt lgkmcnt(1)
	v_lshl_add_u64 v[6:7], s[98:99], 0, v[6:7]
	v_lshl_add_u64 v[6:7], v[6:7], 0, v[2:3]
	s_waitcnt lgkmcnt(0)
	global_store_byte v[6:7], v13, off offset:1792
	s_or_b64 exec, exec, s[4:5]
	s_and_saveexec_b64 s[4:5], s[62:63]
	s_cbranch_execnz .LBB24_230
.LBB24_267:
	s_or_b64 exec, exec, s[4:5]
	s_and_saveexec_b64 s[4:5], s[64:65]
	s_cbranch_execz .LBB24_231
.LBB24_268:
	v_lshlrev_b32_e32 v6, 3, v19
	ds_read_b64 v[6:7], v6
	ds_read_u8 v13, v2 offset:4352
	s_waitcnt lgkmcnt(1)
	v_lshl_add_u64 v[6:7], s[98:99], 0, v[6:7]
	v_lshl_add_u64 v[6:7], v[6:7], 0, v[2:3]
	s_waitcnt lgkmcnt(0)
	global_store_byte v[6:7], v13, off offset:2304
	s_or_b64 exec, exec, s[4:5]
	s_and_saveexec_b64 s[4:5], s[66:67]
	s_cbranch_execnz .LBB24_232
.LBB24_269:
	s_or_b64 exec, exec, s[4:5]
	s_and_saveexec_b64 s[4:5], s[68:69]
	s_cbranch_execz .LBB24_233
.LBB24_270:
	v_lshlrev_b32_e32 v6, 3, v21
	ds_read_b64 v[6:7], v6
	ds_read_u8 v13, v2 offset:4864
	s_waitcnt lgkmcnt(1)
	v_lshl_add_u64 v[6:7], s[98:99], 0, v[6:7]
	v_lshl_add_u64 v[6:7], v[6:7], 0, v[2:3]
	s_waitcnt lgkmcnt(0)
	global_store_byte v[6:7], v13, off offset:2816
	s_or_b64 exec, exec, s[4:5]
	s_and_saveexec_b64 s[4:5], s[70:71]
	s_cbranch_execnz .LBB24_234
.LBB24_271:
	s_or_b64 exec, exec, s[4:5]
	s_and_saveexec_b64 s[4:5], s[72:73]
	s_cbranch_execz .LBB24_235
.LBB24_272:
	v_lshlrev_b32_e32 v6, 3, v23
	ds_read_b64 v[6:7], v6
	ds_read_u8 v13, v2 offset:5376
	s_waitcnt lgkmcnt(1)
	v_lshl_add_u64 v[6:7], s[98:99], 0, v[6:7]
	v_lshl_add_u64 v[6:7], v[6:7], 0, v[2:3]
	s_waitcnt lgkmcnt(0)
	global_store_byte v[6:7], v13, off offset:3328
	s_or_b64 exec, exec, s[4:5]
	s_and_saveexec_b64 s[4:5], s[74:75]
	s_cbranch_execnz .LBB24_236
.LBB24_273:
	s_or_b64 exec, exec, s[4:5]
	s_and_saveexec_b64 s[4:5], s[76:77]
	s_cbranch_execz .LBB24_237
.LBB24_274:
	v_lshlrev_b32_e32 v6, 3, v24
	ds_read_b64 v[6:7], v6
	ds_read_u8 v13, v2 offset:5888
	s_waitcnt lgkmcnt(1)
	v_lshl_add_u64 v[6:7], s[98:99], 0, v[6:7]
	v_lshl_add_u64 v[6:7], v[6:7], 0, v[2:3]
	s_waitcnt lgkmcnt(0)
	global_store_byte v[6:7], v13, off offset:3840
	s_or_b64 exec, exec, s[4:5]
	s_and_saveexec_b64 s[4:5], s[78:79]
	s_cbranch_execnz .LBB24_238
.LBB24_275:
	s_or_b64 exec, exec, s[4:5]
	s_and_saveexec_b64 s[4:5], s[80:81]
	s_cbranch_execz .LBB24_239
.LBB24_276:
	v_lshlrev_b32_e32 v3, 3, v15
	ds_read_b64 v[6:7], v3
	ds_read_u8 v3, v2 offset:6400
	v_mov_b32_e32 v15, 0
	s_waitcnt lgkmcnt(1)
	v_lshl_add_u64 v[6:7], s[98:99], 0, v[6:7]
	v_lshl_add_u64 v[6:7], v[6:7], 0, v[14:15]
	s_waitcnt lgkmcnt(0)
	global_store_byte v[6:7], v3, off
	s_or_b64 exec, exec, s[4:5]
	s_and_saveexec_b64 s[4:5], s[82:83]
	s_cbranch_execnz .LBB24_240
.LBB24_277:
	s_or_b64 exec, exec, s[4:5]
	s_and_saveexec_b64 s[4:5], s[84:85]
	s_cbranch_execz .LBB24_241
.LBB24_278:
	v_lshlrev_b32_e32 v3, 3, v5
	ds_read_b64 v[6:7], v3
	ds_read_u8 v3, v2 offset:6912
	v_mov_b32_e32 v19, 0
	s_waitcnt lgkmcnt(1)
	v_lshl_add_u64 v[6:7], s[98:99], 0, v[6:7]
	v_lshl_add_u64 v[6:7], v[6:7], 0, v[18:19]
	s_waitcnt lgkmcnt(0)
	global_store_byte v[6:7], v3, off
	s_or_b64 exec, exec, s[4:5]
	s_and_saveexec_b64 s[4:5], s[86:87]
	s_cbranch_execnz .LBB24_242
.LBB24_279:
	s_or_b64 exec, exec, s[4:5]
	s_and_saveexec_b64 s[4:5], s[88:89]
	s_cbranch_execz .LBB24_281
.LBB24_280:
	v_lshlrev_b32_e32 v3, 3, v4
	ds_read_b64 v[4:5], v3
	ds_read_u8 v3, v2 offset:7424
	v_mov_b32_e32 v23, 0
	s_waitcnt lgkmcnt(1)
	v_lshl_add_u64 v[4:5], s[98:99], 0, v[4:5]
	v_lshl_add_u64 v[4:5], v[4:5], 0, v[22:23]
	s_waitcnt lgkmcnt(0)
	global_store_byte v[4:5], v3, off
.LBB24_281:
	s_or_b64 exec, exec, s[4:5]
	s_load_dword s4, s[0:1], 0x50
	s_waitcnt lgkmcnt(0)
	s_add_i32 s4, s4, -1
	s_cmp_eq_u32 s2, s4
	s_cbranch_scc0 .LBB24_283
; %bb.282:
	ds_read_b64 v[4:5], v11
	s_load_dwordx4 s[12:15], s[0:1], 0x28
	v_mov_b32_e32 v11, 0
	v_lshl_add_u64 v[6:7], v[10:11], 0, v[8:9]
	v_lshlrev_b32_e32 v8, 3, v2
	s_waitcnt lgkmcnt(0)
	v_lshl_add_u64 v[2:3], v[6:7], 0, v[4:5]
	global_store_dwordx2 v8, v[2:3], s[14:15]
.LBB24_283:
	s_mov_b64 s[4:5], 0
.LBB24_284:
	s_and_b64 vcc, exec, s[4:5]
	s_cbranch_vccz .LBB24_347
; %bb.285:
	s_mov_b32 s7, 0
	s_lshl_b64 s[4:5], s[6:7], 2
	s_add_u32 s4, s92, s4
	v_mbcnt_hi_u32_b32 v4, -1, v1
	v_mov_b32_e32 v5, 0
	s_addc_u32 s5, s93, s5
	v_lshlrev_b32_e32 v2, 2, v4
	v_mov_b32_e32 v3, v5
	v_lshl_add_u64 v[2:3], s[4:5], 0, v[2:3]
	s_load_dword s7, s[0:1], 0x50
	s_load_dword s4, s[0:1], 0x5c
	v_and_b32_e32 v7, 0xc0, v0
	v_mul_u32_u24_e32 v6, 22, v7
	v_lshlrev_b32_e32 v8, 2, v6
	v_mov_b32_e32 v9, v5
	s_add_u32 s0, s0, 0x50
	v_lshl_add_u64 v[10:11], v[2:3], 0, v[8:9]
	s_addc_u32 s1, s1, 0
	s_waitcnt lgkmcnt(0)
	s_lshr_b32 s4, s4, 16
	global_load_dword v13, v[10:11], off
	s_cmp_lt_u32 s2, s7
	s_cselect_b32 s5, 12, 18
	s_add_u32 s0, s0, s5
	s_addc_u32 s1, s1, 0
	global_load_ushort v18, v5, s[0:1]
	v_and_b32_e32 v2, 0x3ff, v0
	v_mul_u32_u24_e32 v3, 20, v2
	ds_write2_b32 v3, v5, v5 offset0:4 offset1:5
	ds_write2_b32 v3, v5, v5 offset0:6 offset1:7
	ds_write_b32 v3, v5 offset:32
	global_load_dword v9, v[10:11], off offset:256
	global_load_dword v8, v[10:11], off offset:512
	;; [unrolled: 1-line block ×15, first 2 shown]
	s_movk_i32 s0, 0x1000
	v_add_co_u32_e32 v16, vcc, s0, v10
	v_bfe_u32 v15, v0, 10, 10
	s_nop 0
	v_addc_co_u32_e32 v17, vcc, 0, v11, vcc
	global_load_dword v45, v[16:17], off
	global_load_dword v41, v[16:17], off offset:256
	global_load_dword v36, v[16:17], off offset:512
	;; [unrolled: 1-line block ×5, first 2 shown]
	v_bfe_u32 v0, v0, 20, 10
	v_mad_u32_u24 v19, v0, s4, v15
	s_lshl_b32 s0, -1, s9
	v_mov_b32_e32 v1, v5
	v_mov_b32_e32 v12, v5
	;; [unrolled: 1-line block ×3, first 2 shown]
	s_not_b32 s9, s0
	s_waitcnt lgkmcnt(0)
	s_barrier
	s_waitcnt vmcnt(22)
	; wave barrier
	v_xor_b32_e32 v11, 0x80000000, v13
	v_lshrrev_b32_e32 v0, s8, v11
	v_bitop3_b32 v20, v0, s0, v0 bitop3:0x30
	v_and_b32_e32 v0, 1, v20
	v_lshlrev_b32_e32 v13, 30, v20
	v_lshlrev_b32_e32 v15, 29, v20
	s_waitcnt vmcnt(21)
	v_mad_u64_u32 v[16:17], s[0:1], v19, v18, v[2:3]
	v_lshl_add_u64 v[18:19], v[0:1], 0, -1
	v_cmp_ne_u32_e32 vcc, 0, v0
	v_not_b32_e32 v0, v13
	v_cmp_gt_i64_e64 s[0:1], 0, v[12:13]
	v_cmp_gt_i64_e64 s[4:5], 0, v[14:15]
	v_not_b32_e32 v1, v15
	v_xor_b32_e32 v13, vcc_hi, v19
	v_xor_b32_e32 v14, vcc_lo, v18
	v_ashrrev_i32_e32 v0, 31, v0
	v_ashrrev_i32_e32 v1, 31, v1
	v_and_b32_e32 v13, exec_hi, v13
	v_and_b32_e32 v14, exec_lo, v14
	v_xor_b32_e32 v15, s1, v0
	v_xor_b32_e32 v0, s0, v0
	v_and_b32_e32 v13, v13, v15
	v_and_b32_e32 v0, v14, v0
	v_xor_b32_e32 v14, s5, v1
	v_xor_b32_e32 v1, s4, v1
	v_and_b32_e32 v13, v13, v14
	v_and_b32_e32 v14, v0, v1
	v_lshlrev_b32_e32 v1, 28, v20
	v_mov_b32_e32 v0, v5
	v_cmp_gt_i64_e32 vcc, 0, v[0:1]
	v_not_b32_e32 v0, v1
	v_ashrrev_i32_e32 v0, 31, v0
	v_xor_b32_e32 v1, vcc_hi, v0
	v_xor_b32_e32 v0, vcc_lo, v0
	v_and_b32_e32 v13, v13, v1
	v_and_b32_e32 v14, v14, v0
	v_lshlrev_b32_e32 v1, 27, v20
	v_mov_b32_e32 v0, v5
	v_cmp_gt_i64_e32 vcc, 0, v[0:1]
	v_not_b32_e32 v0, v1
	v_ashrrev_i32_e32 v0, 31, v0
	v_xor_b32_e32 v1, vcc_hi, v0
	v_xor_b32_e32 v0, vcc_lo, v0
	;; [unrolled: 9-line block ×5, first 2 shown]
	v_and_b32_e32 v0, v14, v0
	v_and_b32_e32 v1, v13, v1
	v_mbcnt_lo_u32_b32 v13, v0, 0
	v_mbcnt_hi_u32_b32 v14, v1, v13
	v_mul_lo_u32 v23, v20, 20
	v_lshrrev_b32_e32 v21, 6, v16
	v_cmp_eq_u32_e32 vcc, 0, v14
	v_cmp_ne_u64_e64 s[0:1], 0, v[0:1]
	v_lshl_add_u32 v12, v21, 2, v23
	s_and_b64 s[4:5], s[0:1], vcc
	s_and_saveexec_b64 s[0:1], s[4:5]
; %bb.286:
	v_bcnt_u32_b32 v0, v0, 0
	v_bcnt_u32_b32 v0, v1, v0
	ds_write_b32 v12, v0 offset:16
; %bb.287:
	s_or_b64 exec, exec, s[0:1]
	s_waitcnt vmcnt(20)
	v_xor_b32_e32 v13, 0x80000000, v9
	v_lshrrev_b32_e32 v0, s8, v13
	v_and_b32_e32 v9, s9, v0
	v_mul_lo_u32 v0, v9, 20
	v_lshl_add_u32 v16, v21, 2, v0
	v_and_b32_e32 v0, 1, v9
	v_mov_b32_e32 v1, v5
	v_lshl_add_u64 v[18:19], v[0:1], 0, -1
	v_cmp_ne_u32_e32 vcc, 0, v0
	; wave barrier
	s_nop 1
	v_xor_b32_e32 v0, vcc_hi, v19
	v_xor_b32_e32 v1, vcc_lo, v18
	v_and_b32_e32 v17, exec_hi, v0
	v_and_b32_e32 v18, exec_lo, v1
	v_lshlrev_b32_e32 v1, 30, v9
	v_mov_b32_e32 v0, v5
	v_cmp_gt_i64_e32 vcc, 0, v[0:1]
	v_not_b32_e32 v0, v1
	v_ashrrev_i32_e32 v0, 31, v0
	v_xor_b32_e32 v1, vcc_hi, v0
	v_xor_b32_e32 v0, vcc_lo, v0
	v_and_b32_e32 v17, v17, v1
	v_and_b32_e32 v18, v18, v0
	v_lshlrev_b32_e32 v1, 29, v9
	v_mov_b32_e32 v0, v5
	v_cmp_gt_i64_e32 vcc, 0, v[0:1]
	v_not_b32_e32 v0, v1
	v_ashrrev_i32_e32 v0, 31, v0
	v_xor_b32_e32 v1, vcc_hi, v0
	v_xor_b32_e32 v0, vcc_lo, v0
	v_and_b32_e32 v17, v17, v1
	v_and_b32_e32 v18, v18, v0
	;; [unrolled: 9-line block ×6, first 2 shown]
	v_lshlrev_b32_e32 v1, 24, v9
	v_mov_b32_e32 v0, v5
	v_cmp_gt_i64_e32 vcc, 0, v[0:1]
	v_not_b32_e32 v0, v1
	v_ashrrev_i32_e32 v0, 31, v0
	v_xor_b32_e32 v1, vcc_hi, v0
	v_xor_b32_e32 v0, vcc_lo, v0
	ds_read_b32 v15, v16 offset:16
	v_and_b32_e32 v0, v18, v0
	v_and_b32_e32 v1, v17, v1
	v_mbcnt_lo_u32_b32 v9, v0, 0
	v_mbcnt_hi_u32_b32 v18, v1, v9
	v_cmp_eq_u32_e32 vcc, 0, v18
	v_cmp_ne_u64_e64 s[0:1], 0, v[0:1]
	s_and_b64 s[4:5], s[0:1], vcc
	; wave barrier
	s_and_saveexec_b64 s[0:1], s[4:5]
	s_cbranch_execz .LBB24_289
; %bb.288:
	v_bcnt_u32_b32 v0, v0, 0
	v_bcnt_u32_b32 v0, v1, v0
	s_waitcnt lgkmcnt(0)
	v_add_u32_e32 v0, v15, v0
	ds_write_b32 v16, v0 offset:16
.LBB24_289:
	s_or_b64 exec, exec, s[0:1]
	s_waitcnt vmcnt(19)
	v_xor_b32_e32 v17, 0x80000000, v8
	v_lshrrev_b32_e32 v0, s8, v17
	v_and_b32_e32 v23, s9, v0
	v_mul_lo_u32 v0, v23, 20
	v_lshl_add_u32 v20, v21, 2, v0
	v_and_b32_e32 v0, 1, v23
	v_mov_b32_e32 v1, 0
	v_lshl_add_u64 v[8:9], v[0:1], 0, -1
	v_cmp_ne_u32_e32 vcc, 0, v0
	; wave barrier
	s_nop 1
	v_xor_b32_e32 v8, vcc_lo, v8
	v_xor_b32_e32 v0, vcc_hi, v9
	v_and_b32_e32 v24, exec_lo, v8
	v_lshlrev_b32_e32 v9, 30, v23
	v_mov_b32_e32 v8, v1
	v_cmp_gt_i64_e32 vcc, 0, v[8:9]
	v_not_b32_e32 v8, v9
	v_ashrrev_i32_e32 v8, 31, v8
	v_and_b32_e32 v0, exec_hi, v0
	v_xor_b32_e32 v9, vcc_hi, v8
	v_xor_b32_e32 v8, vcc_lo, v8
	v_and_b32_e32 v0, v0, v9
	v_and_b32_e32 v24, v24, v8
	v_lshlrev_b32_e32 v9, 29, v23
	v_mov_b32_e32 v8, v1
	v_cmp_gt_i64_e32 vcc, 0, v[8:9]
	v_not_b32_e32 v8, v9
	v_ashrrev_i32_e32 v8, 31, v8
	v_xor_b32_e32 v9, vcc_hi, v8
	v_xor_b32_e32 v8, vcc_lo, v8
	v_and_b32_e32 v0, v0, v9
	v_and_b32_e32 v24, v24, v8
	v_lshlrev_b32_e32 v9, 28, v23
	v_mov_b32_e32 v8, v1
	v_cmp_gt_i64_e32 vcc, 0, v[8:9]
	v_not_b32_e32 v8, v9
	v_ashrrev_i32_e32 v8, 31, v8
	;; [unrolled: 9-line block ×6, first 2 shown]
	v_xor_b32_e32 v9, vcc_hi, v8
	v_xor_b32_e32 v8, vcc_lo, v8
	ds_read_b32 v19, v20 offset:16
	v_and_b32_e32 v8, v24, v8
	v_and_b32_e32 v9, v0, v9
	v_mbcnt_lo_u32_b32 v0, v8, 0
	v_mbcnt_hi_u32_b32 v23, v9, v0
	v_cmp_eq_u32_e32 vcc, 0, v23
	v_cmp_ne_u64_e64 s[0:1], 0, v[8:9]
	s_and_b64 s[4:5], s[0:1], vcc
	; wave barrier
	s_and_saveexec_b64 s[0:1], s[4:5]
	s_cbranch_execz .LBB24_291
; %bb.290:
	v_bcnt_u32_b32 v0, v8, 0
	v_bcnt_u32_b32 v0, v9, v0
	s_waitcnt lgkmcnt(0)
	v_add_u32_e32 v0, v19, v0
	ds_write_b32 v20, v0 offset:16
.LBB24_291:
	s_or_b64 exec, exec, s[0:1]
	s_waitcnt vmcnt(18)
	v_xor_b32_e32 v22, 0x80000000, v22
	v_lshrrev_b32_e32 v0, s8, v22
	v_and_b32_e32 v28, s9, v0
	v_mul_lo_u32 v0, v28, 20
	v_lshl_add_u32 v25, v21, 2, v0
	v_and_b32_e32 v0, 1, v28
	v_lshl_add_u64 v[8:9], v[0:1], 0, -1
	v_cmp_ne_u32_e32 vcc, 0, v0
	; wave barrier
	s_nop 1
	v_xor_b32_e32 v8, vcc_lo, v8
	v_xor_b32_e32 v0, vcc_hi, v9
	v_and_b32_e32 v29, exec_lo, v8
	v_lshlrev_b32_e32 v9, 30, v28
	v_mov_b32_e32 v8, v1
	v_cmp_gt_i64_e32 vcc, 0, v[8:9]
	v_not_b32_e32 v8, v9
	v_ashrrev_i32_e32 v8, 31, v8
	v_and_b32_e32 v0, exec_hi, v0
	v_xor_b32_e32 v9, vcc_hi, v8
	v_xor_b32_e32 v8, vcc_lo, v8
	v_and_b32_e32 v0, v0, v9
	v_and_b32_e32 v29, v29, v8
	v_lshlrev_b32_e32 v9, 29, v28
	v_mov_b32_e32 v8, v1
	v_cmp_gt_i64_e32 vcc, 0, v[8:9]
	v_not_b32_e32 v8, v9
	v_ashrrev_i32_e32 v8, 31, v8
	v_xor_b32_e32 v9, vcc_hi, v8
	v_xor_b32_e32 v8, vcc_lo, v8
	v_and_b32_e32 v0, v0, v9
	v_and_b32_e32 v29, v29, v8
	v_lshlrev_b32_e32 v9, 28, v28
	v_mov_b32_e32 v8, v1
	v_cmp_gt_i64_e32 vcc, 0, v[8:9]
	v_not_b32_e32 v8, v9
	v_ashrrev_i32_e32 v8, 31, v8
	;; [unrolled: 9-line block ×5, first 2 shown]
	v_xor_b32_e32 v9, vcc_hi, v8
	v_xor_b32_e32 v8, vcc_lo, v8
	v_and_b32_e32 v0, v0, v9
	v_lshlrev_b32_e32 v9, 24, v28
	v_and_b32_e32 v29, v29, v8
	v_mov_b32_e32 v8, v1
	v_not_b32_e32 v1, v9
	v_cmp_gt_i64_e32 vcc, 0, v[8:9]
	v_ashrrev_i32_e32 v1, 31, v1
	ds_read_b32 v24, v25 offset:16
	v_xor_b32_e32 v8, vcc_hi, v1
	v_xor_b32_e32 v9, vcc_lo, v1
	v_and_b32_e32 v1, v0, v8
	v_and_b32_e32 v0, v29, v9
	v_mbcnt_lo_u32_b32 v8, v0, 0
	v_mbcnt_hi_u32_b32 v28, v1, v8
	v_cmp_eq_u32_e32 vcc, 0, v28
	v_cmp_ne_u64_e64 s[0:1], 0, v[0:1]
	s_and_b64 s[4:5], s[0:1], vcc
	; wave barrier
	s_and_saveexec_b64 s[0:1], s[4:5]
	s_cbranch_execz .LBB24_293
; %bb.292:
	v_bcnt_u32_b32 v0, v0, 0
	v_bcnt_u32_b32 v0, v1, v0
	s_waitcnt lgkmcnt(0)
	v_add_u32_e32 v0, v24, v0
	ds_write_b32 v25, v0 offset:16
.LBB24_293:
	s_or_b64 exec, exec, s[0:1]
	s_waitcnt vmcnt(17)
	v_xor_b32_e32 v27, 0x80000000, v27
	v_lshrrev_b32_e32 v0, s8, v27
	v_and_b32_e32 v33, s9, v0
	v_mul_lo_u32 v0, v33, 20
	v_lshl_add_u32 v30, v21, 2, v0
	v_and_b32_e32 v0, 1, v33
	v_mov_b32_e32 v1, 0
	v_lshl_add_u64 v[8:9], v[0:1], 0, -1
	v_cmp_ne_u32_e32 vcc, 0, v0
	; wave barrier
	s_nop 1
	v_xor_b32_e32 v8, vcc_lo, v8
	v_xor_b32_e32 v0, vcc_hi, v9
	v_and_b32_e32 v34, exec_lo, v8
	v_lshlrev_b32_e32 v9, 30, v33
	v_mov_b32_e32 v8, v1
	v_cmp_gt_i64_e32 vcc, 0, v[8:9]
	v_not_b32_e32 v8, v9
	v_ashrrev_i32_e32 v8, 31, v8
	v_and_b32_e32 v0, exec_hi, v0
	v_xor_b32_e32 v9, vcc_hi, v8
	v_xor_b32_e32 v8, vcc_lo, v8
	v_and_b32_e32 v0, v0, v9
	v_and_b32_e32 v34, v34, v8
	v_lshlrev_b32_e32 v9, 29, v33
	v_mov_b32_e32 v8, v1
	v_cmp_gt_i64_e32 vcc, 0, v[8:9]
	v_not_b32_e32 v8, v9
	v_ashrrev_i32_e32 v8, 31, v8
	v_xor_b32_e32 v9, vcc_hi, v8
	v_xor_b32_e32 v8, vcc_lo, v8
	v_and_b32_e32 v0, v0, v9
	v_and_b32_e32 v34, v34, v8
	v_lshlrev_b32_e32 v9, 28, v33
	v_mov_b32_e32 v8, v1
	v_cmp_gt_i64_e32 vcc, 0, v[8:9]
	v_not_b32_e32 v8, v9
	v_ashrrev_i32_e32 v8, 31, v8
	;; [unrolled: 9-line block ×6, first 2 shown]
	v_xor_b32_e32 v9, vcc_hi, v8
	v_xor_b32_e32 v8, vcc_lo, v8
	ds_read_b32 v29, v30 offset:16
	v_and_b32_e32 v8, v34, v8
	v_and_b32_e32 v9, v0, v9
	v_mbcnt_lo_u32_b32 v0, v8, 0
	v_mbcnt_hi_u32_b32 v33, v9, v0
	v_cmp_eq_u32_e32 vcc, 0, v33
	v_cmp_ne_u64_e64 s[0:1], 0, v[8:9]
	s_and_b64 s[4:5], s[0:1], vcc
	; wave barrier
	s_and_saveexec_b64 s[0:1], s[4:5]
	s_cbranch_execz .LBB24_295
; %bb.294:
	v_bcnt_u32_b32 v0, v8, 0
	v_bcnt_u32_b32 v0, v9, v0
	s_waitcnt lgkmcnt(0)
	v_add_u32_e32 v0, v29, v0
	ds_write_b32 v30, v0 offset:16
.LBB24_295:
	s_or_b64 exec, exec, s[0:1]
	s_waitcnt vmcnt(16)
	v_xor_b32_e32 v32, 0x80000000, v32
	v_lshrrev_b32_e32 v0, s8, v32
	v_and_b32_e32 v38, s9, v0
	v_mul_lo_u32 v0, v38, 20
	v_lshl_add_u32 v35, v21, 2, v0
	v_and_b32_e32 v0, 1, v38
	v_lshl_add_u64 v[8:9], v[0:1], 0, -1
	v_cmp_ne_u32_e32 vcc, 0, v0
	; wave barrier
	s_nop 1
	v_xor_b32_e32 v8, vcc_lo, v8
	v_xor_b32_e32 v0, vcc_hi, v9
	v_and_b32_e32 v39, exec_lo, v8
	v_lshlrev_b32_e32 v9, 30, v38
	v_mov_b32_e32 v8, v1
	v_cmp_gt_i64_e32 vcc, 0, v[8:9]
	v_not_b32_e32 v8, v9
	v_ashrrev_i32_e32 v8, 31, v8
	v_and_b32_e32 v0, exec_hi, v0
	v_xor_b32_e32 v9, vcc_hi, v8
	v_xor_b32_e32 v8, vcc_lo, v8
	v_and_b32_e32 v0, v0, v9
	v_and_b32_e32 v39, v39, v8
	v_lshlrev_b32_e32 v9, 29, v38
	v_mov_b32_e32 v8, v1
	v_cmp_gt_i64_e32 vcc, 0, v[8:9]
	v_not_b32_e32 v8, v9
	v_ashrrev_i32_e32 v8, 31, v8
	v_xor_b32_e32 v9, vcc_hi, v8
	v_xor_b32_e32 v8, vcc_lo, v8
	v_and_b32_e32 v0, v0, v9
	v_and_b32_e32 v39, v39, v8
	v_lshlrev_b32_e32 v9, 28, v38
	v_mov_b32_e32 v8, v1
	v_cmp_gt_i64_e32 vcc, 0, v[8:9]
	v_not_b32_e32 v8, v9
	v_ashrrev_i32_e32 v8, 31, v8
	;; [unrolled: 9-line block ×5, first 2 shown]
	v_xor_b32_e32 v9, vcc_hi, v8
	v_xor_b32_e32 v8, vcc_lo, v8
	v_and_b32_e32 v0, v0, v9
	v_lshlrev_b32_e32 v9, 24, v38
	v_and_b32_e32 v39, v39, v8
	v_mov_b32_e32 v8, v1
	v_not_b32_e32 v1, v9
	v_cmp_gt_i64_e32 vcc, 0, v[8:9]
	v_ashrrev_i32_e32 v1, 31, v1
	ds_read_b32 v34, v35 offset:16
	v_xor_b32_e32 v8, vcc_hi, v1
	v_xor_b32_e32 v9, vcc_lo, v1
	v_and_b32_e32 v1, v0, v8
	v_and_b32_e32 v0, v39, v9
	v_mbcnt_lo_u32_b32 v8, v0, 0
	v_mbcnt_hi_u32_b32 v38, v1, v8
	v_cmp_eq_u32_e32 vcc, 0, v38
	v_cmp_ne_u64_e64 s[0:1], 0, v[0:1]
	s_and_b64 s[4:5], s[0:1], vcc
	; wave barrier
	s_and_saveexec_b64 s[0:1], s[4:5]
	s_cbranch_execz .LBB24_297
; %bb.296:
	v_bcnt_u32_b32 v0, v0, 0
	v_bcnt_u32_b32 v0, v1, v0
	s_waitcnt lgkmcnt(0)
	v_add_u32_e32 v0, v34, v0
	ds_write_b32 v35, v0 offset:16
.LBB24_297:
	s_or_b64 exec, exec, s[0:1]
	s_waitcnt vmcnt(15)
	v_xor_b32_e32 v37, 0x80000000, v37
	v_lshrrev_b32_e32 v0, s8, v37
	v_and_b32_e32 v43, s9, v0
	v_mul_lo_u32 v0, v43, 20
	v_lshl_add_u32 v40, v21, 2, v0
	v_and_b32_e32 v0, 1, v43
	v_mov_b32_e32 v1, 0
	v_lshl_add_u64 v[8:9], v[0:1], 0, -1
	v_cmp_ne_u32_e32 vcc, 0, v0
	; wave barrier
	s_nop 1
	v_xor_b32_e32 v8, vcc_lo, v8
	v_xor_b32_e32 v0, vcc_hi, v9
	v_and_b32_e32 v44, exec_lo, v8
	v_lshlrev_b32_e32 v9, 30, v43
	v_mov_b32_e32 v8, v1
	v_cmp_gt_i64_e32 vcc, 0, v[8:9]
	v_not_b32_e32 v8, v9
	v_ashrrev_i32_e32 v8, 31, v8
	v_and_b32_e32 v0, exec_hi, v0
	v_xor_b32_e32 v9, vcc_hi, v8
	v_xor_b32_e32 v8, vcc_lo, v8
	v_and_b32_e32 v0, v0, v9
	v_and_b32_e32 v44, v44, v8
	v_lshlrev_b32_e32 v9, 29, v43
	v_mov_b32_e32 v8, v1
	v_cmp_gt_i64_e32 vcc, 0, v[8:9]
	v_not_b32_e32 v8, v9
	v_ashrrev_i32_e32 v8, 31, v8
	v_xor_b32_e32 v9, vcc_hi, v8
	v_xor_b32_e32 v8, vcc_lo, v8
	v_and_b32_e32 v0, v0, v9
	v_and_b32_e32 v44, v44, v8
	v_lshlrev_b32_e32 v9, 28, v43
	v_mov_b32_e32 v8, v1
	v_cmp_gt_i64_e32 vcc, 0, v[8:9]
	v_not_b32_e32 v8, v9
	v_ashrrev_i32_e32 v8, 31, v8
	;; [unrolled: 9-line block ×6, first 2 shown]
	v_xor_b32_e32 v9, vcc_hi, v8
	v_xor_b32_e32 v8, vcc_lo, v8
	ds_read_b32 v39, v40 offset:16
	v_and_b32_e32 v8, v44, v8
	v_and_b32_e32 v9, v0, v9
	v_mbcnt_lo_u32_b32 v0, v8, 0
	v_mbcnt_hi_u32_b32 v43, v9, v0
	v_cmp_eq_u32_e32 vcc, 0, v43
	v_cmp_ne_u64_e64 s[0:1], 0, v[8:9]
	s_and_b64 s[4:5], s[0:1], vcc
	; wave barrier
	s_and_saveexec_b64 s[0:1], s[4:5]
	s_cbranch_execz .LBB24_299
; %bb.298:
	v_bcnt_u32_b32 v0, v8, 0
	v_bcnt_u32_b32 v0, v9, v0
	s_waitcnt lgkmcnt(0)
	v_add_u32_e32 v0, v39, v0
	ds_write_b32 v40, v0 offset:16
.LBB24_299:
	s_or_b64 exec, exec, s[0:1]
	s_waitcnt vmcnt(14)
	v_xor_b32_e32 v42, 0x80000000, v42
	v_lshrrev_b32_e32 v0, s8, v42
	v_and_b32_e32 v48, s9, v0
	v_mul_lo_u32 v0, v48, 20
	v_lshl_add_u32 v46, v21, 2, v0
	v_and_b32_e32 v0, 1, v48
	v_lshl_add_u64 v[8:9], v[0:1], 0, -1
	v_cmp_ne_u32_e32 vcc, 0, v0
	; wave barrier
	s_nop 1
	v_xor_b32_e32 v8, vcc_lo, v8
	v_xor_b32_e32 v0, vcc_hi, v9
	v_and_b32_e32 v49, exec_lo, v8
	v_lshlrev_b32_e32 v9, 30, v48
	v_mov_b32_e32 v8, v1
	v_cmp_gt_i64_e32 vcc, 0, v[8:9]
	v_not_b32_e32 v8, v9
	v_ashrrev_i32_e32 v8, 31, v8
	v_and_b32_e32 v0, exec_hi, v0
	v_xor_b32_e32 v9, vcc_hi, v8
	v_xor_b32_e32 v8, vcc_lo, v8
	v_and_b32_e32 v0, v0, v9
	v_and_b32_e32 v49, v49, v8
	v_lshlrev_b32_e32 v9, 29, v48
	v_mov_b32_e32 v8, v1
	v_cmp_gt_i64_e32 vcc, 0, v[8:9]
	v_not_b32_e32 v8, v9
	v_ashrrev_i32_e32 v8, 31, v8
	v_xor_b32_e32 v9, vcc_hi, v8
	v_xor_b32_e32 v8, vcc_lo, v8
	v_and_b32_e32 v0, v0, v9
	v_and_b32_e32 v49, v49, v8
	v_lshlrev_b32_e32 v9, 28, v48
	v_mov_b32_e32 v8, v1
	v_cmp_gt_i64_e32 vcc, 0, v[8:9]
	v_not_b32_e32 v8, v9
	v_ashrrev_i32_e32 v8, 31, v8
	;; [unrolled: 9-line block ×5, first 2 shown]
	v_xor_b32_e32 v9, vcc_hi, v8
	v_xor_b32_e32 v8, vcc_lo, v8
	v_and_b32_e32 v0, v0, v9
	v_lshlrev_b32_e32 v9, 24, v48
	v_and_b32_e32 v49, v49, v8
	v_mov_b32_e32 v8, v1
	v_not_b32_e32 v1, v9
	v_cmp_gt_i64_e32 vcc, 0, v[8:9]
	v_ashrrev_i32_e32 v1, 31, v1
	ds_read_b32 v44, v46 offset:16
	v_xor_b32_e32 v8, vcc_hi, v1
	v_xor_b32_e32 v9, vcc_lo, v1
	v_and_b32_e32 v1, v0, v8
	v_and_b32_e32 v0, v49, v9
	v_mbcnt_lo_u32_b32 v8, v0, 0
	v_mbcnt_hi_u32_b32 v48, v1, v8
	v_cmp_eq_u32_e32 vcc, 0, v48
	v_cmp_ne_u64_e64 s[0:1], 0, v[0:1]
	s_and_b64 s[4:5], s[0:1], vcc
	; wave barrier
	s_and_saveexec_b64 s[0:1], s[4:5]
	s_cbranch_execz .LBB24_301
; %bb.300:
	v_bcnt_u32_b32 v0, v0, 0
	v_bcnt_u32_b32 v0, v1, v0
	s_waitcnt lgkmcnt(0)
	v_add_u32_e32 v0, v44, v0
	ds_write_b32 v46, v0 offset:16
.LBB24_301:
	s_or_b64 exec, exec, s[0:1]
	s_waitcnt vmcnt(13)
	v_xor_b32_e32 v47, 0x80000000, v47
	v_lshrrev_b32_e32 v0, s8, v47
	v_and_b32_e32 v53, s9, v0
	v_mul_lo_u32 v0, v53, 20
	v_lshl_add_u32 v51, v21, 2, v0
	v_and_b32_e32 v0, 1, v53
	v_mov_b32_e32 v1, 0
	v_lshl_add_u64 v[8:9], v[0:1], 0, -1
	v_cmp_ne_u32_e32 vcc, 0, v0
	; wave barrier
	s_nop 1
	v_xor_b32_e32 v8, vcc_lo, v8
	v_xor_b32_e32 v0, vcc_hi, v9
	v_and_b32_e32 v54, exec_lo, v8
	v_lshlrev_b32_e32 v9, 30, v53
	v_mov_b32_e32 v8, v1
	v_cmp_gt_i64_e32 vcc, 0, v[8:9]
	v_not_b32_e32 v8, v9
	v_ashrrev_i32_e32 v8, 31, v8
	v_and_b32_e32 v0, exec_hi, v0
	v_xor_b32_e32 v9, vcc_hi, v8
	v_xor_b32_e32 v8, vcc_lo, v8
	v_and_b32_e32 v0, v0, v9
	v_and_b32_e32 v54, v54, v8
	v_lshlrev_b32_e32 v9, 29, v53
	v_mov_b32_e32 v8, v1
	v_cmp_gt_i64_e32 vcc, 0, v[8:9]
	v_not_b32_e32 v8, v9
	v_ashrrev_i32_e32 v8, 31, v8
	v_xor_b32_e32 v9, vcc_hi, v8
	v_xor_b32_e32 v8, vcc_lo, v8
	v_and_b32_e32 v0, v0, v9
	v_and_b32_e32 v54, v54, v8
	v_lshlrev_b32_e32 v9, 28, v53
	v_mov_b32_e32 v8, v1
	v_cmp_gt_i64_e32 vcc, 0, v[8:9]
	v_not_b32_e32 v8, v9
	v_ashrrev_i32_e32 v8, 31, v8
	;; [unrolled: 9-line block ×6, first 2 shown]
	v_xor_b32_e32 v9, vcc_hi, v8
	v_xor_b32_e32 v8, vcc_lo, v8
	ds_read_b32 v49, v51 offset:16
	v_and_b32_e32 v8, v54, v8
	v_and_b32_e32 v9, v0, v9
	v_mbcnt_lo_u32_b32 v0, v8, 0
	v_mbcnt_hi_u32_b32 v53, v9, v0
	v_cmp_eq_u32_e32 vcc, 0, v53
	v_cmp_ne_u64_e64 s[0:1], 0, v[8:9]
	s_and_b64 s[4:5], s[0:1], vcc
	; wave barrier
	s_and_saveexec_b64 s[0:1], s[4:5]
	s_cbranch_execz .LBB24_303
; %bb.302:
	v_bcnt_u32_b32 v0, v8, 0
	v_bcnt_u32_b32 v0, v9, v0
	s_waitcnt lgkmcnt(0)
	v_add_u32_e32 v0, v49, v0
	ds_write_b32 v51, v0 offset:16
.LBB24_303:
	s_or_b64 exec, exec, s[0:1]
	s_waitcnt vmcnt(12)
	v_xor_b32_e32 v52, 0x80000000, v52
	v_lshrrev_b32_e32 v0, s8, v52
	v_and_b32_e32 v58, s9, v0
	v_mul_lo_u32 v0, v58, 20
	v_lshl_add_u32 v56, v21, 2, v0
	v_and_b32_e32 v0, 1, v58
	v_lshl_add_u64 v[8:9], v[0:1], 0, -1
	v_cmp_ne_u32_e32 vcc, 0, v0
	; wave barrier
	s_nop 1
	v_xor_b32_e32 v8, vcc_lo, v8
	v_xor_b32_e32 v0, vcc_hi, v9
	v_and_b32_e32 v59, exec_lo, v8
	v_lshlrev_b32_e32 v9, 30, v58
	v_mov_b32_e32 v8, v1
	v_cmp_gt_i64_e32 vcc, 0, v[8:9]
	v_not_b32_e32 v8, v9
	v_ashrrev_i32_e32 v8, 31, v8
	v_and_b32_e32 v0, exec_hi, v0
	v_xor_b32_e32 v9, vcc_hi, v8
	v_xor_b32_e32 v8, vcc_lo, v8
	v_and_b32_e32 v0, v0, v9
	v_and_b32_e32 v59, v59, v8
	v_lshlrev_b32_e32 v9, 29, v58
	v_mov_b32_e32 v8, v1
	v_cmp_gt_i64_e32 vcc, 0, v[8:9]
	v_not_b32_e32 v8, v9
	v_ashrrev_i32_e32 v8, 31, v8
	v_xor_b32_e32 v9, vcc_hi, v8
	v_xor_b32_e32 v8, vcc_lo, v8
	v_and_b32_e32 v0, v0, v9
	v_and_b32_e32 v59, v59, v8
	v_lshlrev_b32_e32 v9, 28, v58
	v_mov_b32_e32 v8, v1
	v_cmp_gt_i64_e32 vcc, 0, v[8:9]
	v_not_b32_e32 v8, v9
	v_ashrrev_i32_e32 v8, 31, v8
	;; [unrolled: 9-line block ×5, first 2 shown]
	v_xor_b32_e32 v9, vcc_hi, v8
	v_xor_b32_e32 v8, vcc_lo, v8
	v_and_b32_e32 v0, v0, v9
	v_lshlrev_b32_e32 v9, 24, v58
	v_and_b32_e32 v59, v59, v8
	v_mov_b32_e32 v8, v1
	v_not_b32_e32 v1, v9
	v_cmp_gt_i64_e32 vcc, 0, v[8:9]
	v_ashrrev_i32_e32 v1, 31, v1
	ds_read_b32 v54, v56 offset:16
	v_xor_b32_e32 v8, vcc_hi, v1
	v_xor_b32_e32 v9, vcc_lo, v1
	v_and_b32_e32 v1, v0, v8
	v_and_b32_e32 v0, v59, v9
	v_mbcnt_lo_u32_b32 v8, v0, 0
	v_mbcnt_hi_u32_b32 v58, v1, v8
	v_cmp_eq_u32_e32 vcc, 0, v58
	v_cmp_ne_u64_e64 s[0:1], 0, v[0:1]
	s_and_b64 s[4:5], s[0:1], vcc
	; wave barrier
	s_and_saveexec_b64 s[0:1], s[4:5]
	s_cbranch_execz .LBB24_305
; %bb.304:
	v_bcnt_u32_b32 v0, v0, 0
	v_bcnt_u32_b32 v0, v1, v0
	s_waitcnt lgkmcnt(0)
	v_add_u32_e32 v0, v54, v0
	ds_write_b32 v56, v0 offset:16
.LBB24_305:
	s_or_b64 exec, exec, s[0:1]
	s_waitcnt vmcnt(11)
	v_xor_b32_e32 v57, 0x80000000, v57
	v_lshrrev_b32_e32 v0, s8, v57
	v_and_b32_e32 v63, s9, v0
	v_mul_lo_u32 v0, v63, 20
	v_lshl_add_u32 v61, v21, 2, v0
	v_and_b32_e32 v0, 1, v63
	v_mov_b32_e32 v1, 0
	v_lshl_add_u64 v[8:9], v[0:1], 0, -1
	v_cmp_ne_u32_e32 vcc, 0, v0
	; wave barrier
	s_nop 1
	v_xor_b32_e32 v8, vcc_lo, v8
	v_xor_b32_e32 v0, vcc_hi, v9
	v_and_b32_e32 v64, exec_lo, v8
	v_lshlrev_b32_e32 v9, 30, v63
	v_mov_b32_e32 v8, v1
	v_cmp_gt_i64_e32 vcc, 0, v[8:9]
	v_not_b32_e32 v8, v9
	v_ashrrev_i32_e32 v8, 31, v8
	v_and_b32_e32 v0, exec_hi, v0
	v_xor_b32_e32 v9, vcc_hi, v8
	v_xor_b32_e32 v8, vcc_lo, v8
	v_and_b32_e32 v0, v0, v9
	v_and_b32_e32 v64, v64, v8
	v_lshlrev_b32_e32 v9, 29, v63
	v_mov_b32_e32 v8, v1
	v_cmp_gt_i64_e32 vcc, 0, v[8:9]
	v_not_b32_e32 v8, v9
	v_ashrrev_i32_e32 v8, 31, v8
	v_xor_b32_e32 v9, vcc_hi, v8
	v_xor_b32_e32 v8, vcc_lo, v8
	v_and_b32_e32 v0, v0, v9
	v_and_b32_e32 v64, v64, v8
	v_lshlrev_b32_e32 v9, 28, v63
	v_mov_b32_e32 v8, v1
	v_cmp_gt_i64_e32 vcc, 0, v[8:9]
	v_not_b32_e32 v8, v9
	v_ashrrev_i32_e32 v8, 31, v8
	;; [unrolled: 9-line block ×6, first 2 shown]
	v_xor_b32_e32 v9, vcc_hi, v8
	v_xor_b32_e32 v8, vcc_lo, v8
	ds_read_b32 v59, v61 offset:16
	v_and_b32_e32 v8, v64, v8
	v_and_b32_e32 v9, v0, v9
	v_mbcnt_lo_u32_b32 v0, v8, 0
	v_mbcnt_hi_u32_b32 v63, v9, v0
	v_cmp_eq_u32_e32 vcc, 0, v63
	v_cmp_ne_u64_e64 s[0:1], 0, v[8:9]
	s_and_b64 s[4:5], s[0:1], vcc
	; wave barrier
	s_and_saveexec_b64 s[0:1], s[4:5]
	s_cbranch_execz .LBB24_307
; %bb.306:
	v_bcnt_u32_b32 v0, v8, 0
	v_bcnt_u32_b32 v0, v9, v0
	s_waitcnt lgkmcnt(0)
	v_add_u32_e32 v0, v59, v0
	ds_write_b32 v61, v0 offset:16
.LBB24_307:
	s_or_b64 exec, exec, s[0:1]
	s_waitcnt vmcnt(10)
	v_xor_b32_e32 v62, 0x80000000, v62
	v_lshrrev_b32_e32 v0, s8, v62
	v_and_b32_e32 v67, s9, v0
	v_mul_lo_u32 v0, v67, 20
	v_lshl_add_u32 v66, v21, 2, v0
	v_and_b32_e32 v0, 1, v67
	v_lshl_add_u64 v[8:9], v[0:1], 0, -1
	v_cmp_ne_u32_e32 vcc, 0, v0
	; wave barrier
	s_nop 1
	v_xor_b32_e32 v8, vcc_lo, v8
	v_xor_b32_e32 v0, vcc_hi, v9
	v_and_b32_e32 v68, exec_lo, v8
	v_lshlrev_b32_e32 v9, 30, v67
	v_mov_b32_e32 v8, v1
	v_cmp_gt_i64_e32 vcc, 0, v[8:9]
	v_not_b32_e32 v8, v9
	v_ashrrev_i32_e32 v8, 31, v8
	v_and_b32_e32 v0, exec_hi, v0
	v_xor_b32_e32 v9, vcc_hi, v8
	v_xor_b32_e32 v8, vcc_lo, v8
	v_and_b32_e32 v0, v0, v9
	v_and_b32_e32 v68, v68, v8
	v_lshlrev_b32_e32 v9, 29, v67
	v_mov_b32_e32 v8, v1
	v_cmp_gt_i64_e32 vcc, 0, v[8:9]
	v_not_b32_e32 v8, v9
	v_ashrrev_i32_e32 v8, 31, v8
	v_xor_b32_e32 v9, vcc_hi, v8
	v_xor_b32_e32 v8, vcc_lo, v8
	v_and_b32_e32 v0, v0, v9
	v_and_b32_e32 v68, v68, v8
	v_lshlrev_b32_e32 v9, 28, v67
	v_mov_b32_e32 v8, v1
	v_cmp_gt_i64_e32 vcc, 0, v[8:9]
	v_not_b32_e32 v8, v9
	v_ashrrev_i32_e32 v8, 31, v8
	;; [unrolled: 9-line block ×5, first 2 shown]
	v_xor_b32_e32 v9, vcc_hi, v8
	v_xor_b32_e32 v8, vcc_lo, v8
	v_and_b32_e32 v0, v0, v9
	v_lshlrev_b32_e32 v9, 24, v67
	v_and_b32_e32 v68, v68, v8
	v_mov_b32_e32 v8, v1
	v_not_b32_e32 v1, v9
	v_cmp_gt_i64_e32 vcc, 0, v[8:9]
	v_ashrrev_i32_e32 v1, 31, v1
	ds_read_b32 v64, v66 offset:16
	v_xor_b32_e32 v8, vcc_hi, v1
	v_xor_b32_e32 v9, vcc_lo, v1
	v_and_b32_e32 v1, v0, v8
	v_and_b32_e32 v0, v68, v9
	v_mbcnt_lo_u32_b32 v8, v0, 0
	v_mbcnt_hi_u32_b32 v67, v1, v8
	v_cmp_eq_u32_e32 vcc, 0, v67
	v_cmp_ne_u64_e64 s[0:1], 0, v[0:1]
	s_and_b64 s[4:5], s[0:1], vcc
	; wave barrier
	s_and_saveexec_b64 s[0:1], s[4:5]
	s_cbranch_execz .LBB24_309
; %bb.308:
	v_bcnt_u32_b32 v0, v0, 0
	v_bcnt_u32_b32 v0, v1, v0
	s_waitcnt lgkmcnt(0)
	v_add_u32_e32 v0, v64, v0
	ds_write_b32 v66, v0 offset:16
.LBB24_309:
	s_or_b64 exec, exec, s[0:1]
	s_waitcnt vmcnt(9)
	v_xor_b32_e32 v65, 0x80000000, v65
	v_lshrrev_b32_e32 v0, s8, v65
	v_and_b32_e32 v70, s9, v0
	v_mul_lo_u32 v0, v70, 20
	v_lshl_add_u32 v69, v21, 2, v0
	v_and_b32_e32 v0, 1, v70
	v_mov_b32_e32 v1, 0
	v_lshl_add_u64 v[8:9], v[0:1], 0, -1
	v_cmp_ne_u32_e32 vcc, 0, v0
	; wave barrier
	s_nop 1
	v_xor_b32_e32 v8, vcc_lo, v8
	v_xor_b32_e32 v0, vcc_hi, v9
	v_and_b32_e32 v71, exec_lo, v8
	v_lshlrev_b32_e32 v9, 30, v70
	v_mov_b32_e32 v8, v1
	v_cmp_gt_i64_e32 vcc, 0, v[8:9]
	v_not_b32_e32 v8, v9
	v_ashrrev_i32_e32 v8, 31, v8
	v_and_b32_e32 v0, exec_hi, v0
	v_xor_b32_e32 v9, vcc_hi, v8
	v_xor_b32_e32 v8, vcc_lo, v8
	v_and_b32_e32 v0, v0, v9
	v_and_b32_e32 v71, v71, v8
	v_lshlrev_b32_e32 v9, 29, v70
	v_mov_b32_e32 v8, v1
	v_cmp_gt_i64_e32 vcc, 0, v[8:9]
	v_not_b32_e32 v8, v9
	v_ashrrev_i32_e32 v8, 31, v8
	v_xor_b32_e32 v9, vcc_hi, v8
	v_xor_b32_e32 v8, vcc_lo, v8
	v_and_b32_e32 v0, v0, v9
	v_and_b32_e32 v71, v71, v8
	v_lshlrev_b32_e32 v9, 28, v70
	v_mov_b32_e32 v8, v1
	v_cmp_gt_i64_e32 vcc, 0, v[8:9]
	v_not_b32_e32 v8, v9
	v_ashrrev_i32_e32 v8, 31, v8
	;; [unrolled: 9-line block ×6, first 2 shown]
	v_xor_b32_e32 v9, vcc_hi, v8
	v_xor_b32_e32 v8, vcc_lo, v8
	ds_read_b32 v68, v69 offset:16
	v_and_b32_e32 v8, v71, v8
	v_and_b32_e32 v9, v0, v9
	v_mbcnt_lo_u32_b32 v0, v8, 0
	v_mbcnt_hi_u32_b32 v70, v9, v0
	v_cmp_eq_u32_e32 vcc, 0, v70
	v_cmp_ne_u64_e64 s[0:1], 0, v[8:9]
	s_and_b64 s[4:5], s[0:1], vcc
	; wave barrier
	s_and_saveexec_b64 s[0:1], s[4:5]
	s_cbranch_execz .LBB24_311
; %bb.310:
	v_bcnt_u32_b32 v0, v8, 0
	v_bcnt_u32_b32 v0, v9, v0
	s_waitcnt lgkmcnt(0)
	v_add_u32_e32 v0, v68, v0
	ds_write_b32 v69, v0 offset:16
.LBB24_311:
	s_or_b64 exec, exec, s[0:1]
	s_waitcnt vmcnt(8)
	v_xor_b32_e32 v60, 0x80000000, v60
	v_lshrrev_b32_e32 v0, s8, v60
	v_and_b32_e32 v73, s9, v0
	v_mul_lo_u32 v0, v73, 20
	v_lshl_add_u32 v72, v21, 2, v0
	v_and_b32_e32 v0, 1, v73
	v_lshl_add_u64 v[8:9], v[0:1], 0, -1
	v_cmp_ne_u32_e32 vcc, 0, v0
	; wave barrier
	s_nop 1
	v_xor_b32_e32 v8, vcc_lo, v8
	v_xor_b32_e32 v0, vcc_hi, v9
	v_and_b32_e32 v74, exec_lo, v8
	v_lshlrev_b32_e32 v9, 30, v73
	v_mov_b32_e32 v8, v1
	v_cmp_gt_i64_e32 vcc, 0, v[8:9]
	v_not_b32_e32 v8, v9
	v_ashrrev_i32_e32 v8, 31, v8
	v_and_b32_e32 v0, exec_hi, v0
	v_xor_b32_e32 v9, vcc_hi, v8
	v_xor_b32_e32 v8, vcc_lo, v8
	v_and_b32_e32 v0, v0, v9
	v_and_b32_e32 v74, v74, v8
	v_lshlrev_b32_e32 v9, 29, v73
	v_mov_b32_e32 v8, v1
	v_cmp_gt_i64_e32 vcc, 0, v[8:9]
	v_not_b32_e32 v8, v9
	v_ashrrev_i32_e32 v8, 31, v8
	v_xor_b32_e32 v9, vcc_hi, v8
	v_xor_b32_e32 v8, vcc_lo, v8
	v_and_b32_e32 v0, v0, v9
	v_and_b32_e32 v74, v74, v8
	v_lshlrev_b32_e32 v9, 28, v73
	v_mov_b32_e32 v8, v1
	v_cmp_gt_i64_e32 vcc, 0, v[8:9]
	v_not_b32_e32 v8, v9
	v_ashrrev_i32_e32 v8, 31, v8
	;; [unrolled: 9-line block ×5, first 2 shown]
	v_xor_b32_e32 v9, vcc_hi, v8
	v_xor_b32_e32 v8, vcc_lo, v8
	v_and_b32_e32 v0, v0, v9
	v_lshlrev_b32_e32 v9, 24, v73
	v_and_b32_e32 v74, v74, v8
	v_mov_b32_e32 v8, v1
	v_not_b32_e32 v1, v9
	v_cmp_gt_i64_e32 vcc, 0, v[8:9]
	v_ashrrev_i32_e32 v1, 31, v1
	ds_read_b32 v71, v72 offset:16
	v_xor_b32_e32 v8, vcc_hi, v1
	v_xor_b32_e32 v9, vcc_lo, v1
	v_and_b32_e32 v1, v0, v8
	v_and_b32_e32 v0, v74, v9
	v_mbcnt_lo_u32_b32 v8, v0, 0
	v_mbcnt_hi_u32_b32 v73, v1, v8
	v_cmp_eq_u32_e32 vcc, 0, v73
	v_cmp_ne_u64_e64 s[0:1], 0, v[0:1]
	s_and_b64 s[4:5], s[0:1], vcc
	; wave barrier
	s_and_saveexec_b64 s[0:1], s[4:5]
	s_cbranch_execz .LBB24_313
; %bb.312:
	v_bcnt_u32_b32 v0, v0, 0
	v_bcnt_u32_b32 v0, v1, v0
	s_waitcnt lgkmcnt(0)
	v_add_u32_e32 v0, v71, v0
	ds_write_b32 v72, v0 offset:16
.LBB24_313:
	s_or_b64 exec, exec, s[0:1]
	s_waitcnt vmcnt(7)
	v_xor_b32_e32 v55, 0x80000000, v55
	v_lshrrev_b32_e32 v0, s8, v55
	v_and_b32_e32 v76, s9, v0
	v_mul_lo_u32 v0, v76, 20
	v_lshl_add_u32 v75, v21, 2, v0
	v_and_b32_e32 v0, 1, v76
	v_mov_b32_e32 v1, 0
	v_lshl_add_u64 v[8:9], v[0:1], 0, -1
	v_cmp_ne_u32_e32 vcc, 0, v0
	; wave barrier
	s_nop 1
	v_xor_b32_e32 v8, vcc_lo, v8
	v_xor_b32_e32 v0, vcc_hi, v9
	v_and_b32_e32 v77, exec_lo, v8
	v_lshlrev_b32_e32 v9, 30, v76
	v_mov_b32_e32 v8, v1
	v_cmp_gt_i64_e32 vcc, 0, v[8:9]
	v_not_b32_e32 v8, v9
	v_ashrrev_i32_e32 v8, 31, v8
	v_and_b32_e32 v0, exec_hi, v0
	v_xor_b32_e32 v9, vcc_hi, v8
	v_xor_b32_e32 v8, vcc_lo, v8
	v_and_b32_e32 v0, v0, v9
	v_and_b32_e32 v77, v77, v8
	v_lshlrev_b32_e32 v9, 29, v76
	v_mov_b32_e32 v8, v1
	v_cmp_gt_i64_e32 vcc, 0, v[8:9]
	v_not_b32_e32 v8, v9
	v_ashrrev_i32_e32 v8, 31, v8
	v_xor_b32_e32 v9, vcc_hi, v8
	v_xor_b32_e32 v8, vcc_lo, v8
	v_and_b32_e32 v0, v0, v9
	v_and_b32_e32 v77, v77, v8
	v_lshlrev_b32_e32 v9, 28, v76
	v_mov_b32_e32 v8, v1
	v_cmp_gt_i64_e32 vcc, 0, v[8:9]
	v_not_b32_e32 v8, v9
	v_ashrrev_i32_e32 v8, 31, v8
	;; [unrolled: 9-line block ×6, first 2 shown]
	v_xor_b32_e32 v9, vcc_hi, v8
	v_xor_b32_e32 v8, vcc_lo, v8
	ds_read_b32 v74, v75 offset:16
	v_and_b32_e32 v8, v77, v8
	v_and_b32_e32 v9, v0, v9
	v_mbcnt_lo_u32_b32 v0, v8, 0
	v_mbcnt_hi_u32_b32 v76, v9, v0
	v_cmp_eq_u32_e32 vcc, 0, v76
	v_cmp_ne_u64_e64 s[0:1], 0, v[8:9]
	s_and_b64 s[4:5], s[0:1], vcc
	; wave barrier
	s_and_saveexec_b64 s[0:1], s[4:5]
	s_cbranch_execz .LBB24_315
; %bb.314:
	v_bcnt_u32_b32 v0, v8, 0
	v_bcnt_u32_b32 v0, v9, v0
	s_waitcnt lgkmcnt(0)
	v_add_u32_e32 v0, v74, v0
	ds_write_b32 v75, v0 offset:16
.LBB24_315:
	s_or_b64 exec, exec, s[0:1]
	s_waitcnt vmcnt(6)
	v_xor_b32_e32 v50, 0x80000000, v50
	v_lshrrev_b32_e32 v0, s8, v50
	v_and_b32_e32 v79, s9, v0
	v_mul_lo_u32 v0, v79, 20
	v_lshl_add_u32 v78, v21, 2, v0
	v_and_b32_e32 v0, 1, v79
	v_lshl_add_u64 v[8:9], v[0:1], 0, -1
	v_cmp_ne_u32_e32 vcc, 0, v0
	; wave barrier
	s_nop 1
	v_xor_b32_e32 v8, vcc_lo, v8
	v_xor_b32_e32 v0, vcc_hi, v9
	v_and_b32_e32 v80, exec_lo, v8
	v_lshlrev_b32_e32 v9, 30, v79
	v_mov_b32_e32 v8, v1
	v_cmp_gt_i64_e32 vcc, 0, v[8:9]
	v_not_b32_e32 v8, v9
	v_ashrrev_i32_e32 v8, 31, v8
	v_and_b32_e32 v0, exec_hi, v0
	v_xor_b32_e32 v9, vcc_hi, v8
	v_xor_b32_e32 v8, vcc_lo, v8
	v_and_b32_e32 v0, v0, v9
	v_and_b32_e32 v80, v80, v8
	v_lshlrev_b32_e32 v9, 29, v79
	v_mov_b32_e32 v8, v1
	v_cmp_gt_i64_e32 vcc, 0, v[8:9]
	v_not_b32_e32 v8, v9
	v_ashrrev_i32_e32 v8, 31, v8
	v_xor_b32_e32 v9, vcc_hi, v8
	v_xor_b32_e32 v8, vcc_lo, v8
	v_and_b32_e32 v0, v0, v9
	v_and_b32_e32 v80, v80, v8
	v_lshlrev_b32_e32 v9, 28, v79
	v_mov_b32_e32 v8, v1
	v_cmp_gt_i64_e32 vcc, 0, v[8:9]
	v_not_b32_e32 v8, v9
	v_ashrrev_i32_e32 v8, 31, v8
	;; [unrolled: 9-line block ×5, first 2 shown]
	v_xor_b32_e32 v9, vcc_hi, v8
	v_xor_b32_e32 v8, vcc_lo, v8
	v_and_b32_e32 v0, v0, v9
	v_lshlrev_b32_e32 v9, 24, v79
	v_and_b32_e32 v80, v80, v8
	v_mov_b32_e32 v8, v1
	v_not_b32_e32 v1, v9
	v_cmp_gt_i64_e32 vcc, 0, v[8:9]
	v_ashrrev_i32_e32 v1, 31, v1
	ds_read_b32 v77, v78 offset:16
	v_xor_b32_e32 v8, vcc_hi, v1
	v_xor_b32_e32 v9, vcc_lo, v1
	v_and_b32_e32 v1, v0, v8
	v_and_b32_e32 v0, v80, v9
	v_mbcnt_lo_u32_b32 v8, v0, 0
	v_mbcnt_hi_u32_b32 v79, v1, v8
	v_cmp_eq_u32_e32 vcc, 0, v79
	v_cmp_ne_u64_e64 s[0:1], 0, v[0:1]
	s_and_b64 s[4:5], s[0:1], vcc
	; wave barrier
	s_and_saveexec_b64 s[0:1], s[4:5]
	s_cbranch_execz .LBB24_317
; %bb.316:
	v_bcnt_u32_b32 v0, v0, 0
	v_bcnt_u32_b32 v0, v1, v0
	s_waitcnt lgkmcnt(0)
	v_add_u32_e32 v0, v77, v0
	ds_write_b32 v78, v0 offset:16
.LBB24_317:
	s_or_b64 exec, exec, s[0:1]
	s_waitcnt vmcnt(5)
	v_xor_b32_e32 v45, 0x80000000, v45
	v_lshrrev_b32_e32 v0, s8, v45
	v_and_b32_e32 v82, s9, v0
	v_mul_lo_u32 v0, v82, 20
	v_lshl_add_u32 v81, v21, 2, v0
	v_and_b32_e32 v0, 1, v82
	v_mov_b32_e32 v1, 0
	v_lshl_add_u64 v[8:9], v[0:1], 0, -1
	v_cmp_ne_u32_e32 vcc, 0, v0
	; wave barrier
	s_nop 1
	v_xor_b32_e32 v8, vcc_lo, v8
	v_xor_b32_e32 v0, vcc_hi, v9
	v_and_b32_e32 v83, exec_lo, v8
	v_lshlrev_b32_e32 v9, 30, v82
	v_mov_b32_e32 v8, v1
	v_cmp_gt_i64_e32 vcc, 0, v[8:9]
	v_not_b32_e32 v8, v9
	v_ashrrev_i32_e32 v8, 31, v8
	v_and_b32_e32 v0, exec_hi, v0
	v_xor_b32_e32 v9, vcc_hi, v8
	v_xor_b32_e32 v8, vcc_lo, v8
	v_and_b32_e32 v0, v0, v9
	v_and_b32_e32 v83, v83, v8
	v_lshlrev_b32_e32 v9, 29, v82
	v_mov_b32_e32 v8, v1
	v_cmp_gt_i64_e32 vcc, 0, v[8:9]
	v_not_b32_e32 v8, v9
	v_ashrrev_i32_e32 v8, 31, v8
	v_xor_b32_e32 v9, vcc_hi, v8
	v_xor_b32_e32 v8, vcc_lo, v8
	v_and_b32_e32 v0, v0, v9
	v_and_b32_e32 v83, v83, v8
	v_lshlrev_b32_e32 v9, 28, v82
	v_mov_b32_e32 v8, v1
	v_cmp_gt_i64_e32 vcc, 0, v[8:9]
	v_not_b32_e32 v8, v9
	v_ashrrev_i32_e32 v8, 31, v8
	;; [unrolled: 9-line block ×6, first 2 shown]
	v_xor_b32_e32 v9, vcc_hi, v8
	v_xor_b32_e32 v8, vcc_lo, v8
	ds_read_b32 v80, v81 offset:16
	v_and_b32_e32 v8, v83, v8
	v_and_b32_e32 v9, v0, v9
	v_mbcnt_lo_u32_b32 v0, v8, 0
	v_mbcnt_hi_u32_b32 v82, v9, v0
	v_cmp_eq_u32_e32 vcc, 0, v82
	v_cmp_ne_u64_e64 s[0:1], 0, v[8:9]
	s_and_b64 s[4:5], s[0:1], vcc
	; wave barrier
	s_and_saveexec_b64 s[0:1], s[4:5]
	s_cbranch_execz .LBB24_319
; %bb.318:
	v_bcnt_u32_b32 v0, v8, 0
	v_bcnt_u32_b32 v0, v9, v0
	s_waitcnt lgkmcnt(0)
	v_add_u32_e32 v0, v80, v0
	ds_write_b32 v81, v0 offset:16
.LBB24_319:
	s_or_b64 exec, exec, s[0:1]
	s_waitcnt vmcnt(4)
	v_xor_b32_e32 v41, 0x80000000, v41
	v_lshrrev_b32_e32 v0, s8, v41
	v_and_b32_e32 v85, s9, v0
	v_mul_lo_u32 v0, v85, 20
	v_lshl_add_u32 v84, v21, 2, v0
	v_and_b32_e32 v0, 1, v85
	v_lshl_add_u64 v[8:9], v[0:1], 0, -1
	v_cmp_ne_u32_e32 vcc, 0, v0
	; wave barrier
	s_nop 1
	v_xor_b32_e32 v8, vcc_lo, v8
	v_xor_b32_e32 v0, vcc_hi, v9
	v_and_b32_e32 v86, exec_lo, v8
	v_lshlrev_b32_e32 v9, 30, v85
	v_mov_b32_e32 v8, v1
	v_cmp_gt_i64_e32 vcc, 0, v[8:9]
	v_not_b32_e32 v8, v9
	v_ashrrev_i32_e32 v8, 31, v8
	v_and_b32_e32 v0, exec_hi, v0
	v_xor_b32_e32 v9, vcc_hi, v8
	v_xor_b32_e32 v8, vcc_lo, v8
	v_and_b32_e32 v0, v0, v9
	v_and_b32_e32 v86, v86, v8
	v_lshlrev_b32_e32 v9, 29, v85
	v_mov_b32_e32 v8, v1
	v_cmp_gt_i64_e32 vcc, 0, v[8:9]
	v_not_b32_e32 v8, v9
	v_ashrrev_i32_e32 v8, 31, v8
	v_xor_b32_e32 v9, vcc_hi, v8
	v_xor_b32_e32 v8, vcc_lo, v8
	v_and_b32_e32 v0, v0, v9
	v_and_b32_e32 v86, v86, v8
	v_lshlrev_b32_e32 v9, 28, v85
	v_mov_b32_e32 v8, v1
	v_cmp_gt_i64_e32 vcc, 0, v[8:9]
	v_not_b32_e32 v8, v9
	v_ashrrev_i32_e32 v8, 31, v8
	;; [unrolled: 9-line block ×5, first 2 shown]
	v_xor_b32_e32 v9, vcc_hi, v8
	v_xor_b32_e32 v8, vcc_lo, v8
	v_and_b32_e32 v0, v0, v9
	v_lshlrev_b32_e32 v9, 24, v85
	v_and_b32_e32 v86, v86, v8
	v_mov_b32_e32 v8, v1
	v_not_b32_e32 v1, v9
	v_cmp_gt_i64_e32 vcc, 0, v[8:9]
	v_ashrrev_i32_e32 v1, 31, v1
	ds_read_b32 v83, v84 offset:16
	v_xor_b32_e32 v8, vcc_hi, v1
	v_xor_b32_e32 v9, vcc_lo, v1
	v_and_b32_e32 v1, v0, v8
	v_and_b32_e32 v0, v86, v9
	v_mbcnt_lo_u32_b32 v8, v0, 0
	v_mbcnt_hi_u32_b32 v85, v1, v8
	v_cmp_eq_u32_e32 vcc, 0, v85
	v_cmp_ne_u64_e64 s[0:1], 0, v[0:1]
	s_and_b64 s[4:5], s[0:1], vcc
	; wave barrier
	s_and_saveexec_b64 s[0:1], s[4:5]
	s_cbranch_execz .LBB24_321
; %bb.320:
	v_bcnt_u32_b32 v0, v0, 0
	v_bcnt_u32_b32 v0, v1, v0
	s_waitcnt lgkmcnt(0)
	v_add_u32_e32 v0, v83, v0
	ds_write_b32 v84, v0 offset:16
.LBB24_321:
	s_or_b64 exec, exec, s[0:1]
	s_waitcnt vmcnt(3)
	v_xor_b32_e32 v36, 0x80000000, v36
	v_lshrrev_b32_e32 v0, s8, v36
	v_and_b32_e32 v88, s9, v0
	v_mul_lo_u32 v0, v88, 20
	v_lshl_add_u32 v87, v21, 2, v0
	v_and_b32_e32 v0, 1, v88
	v_mov_b32_e32 v1, 0
	v_lshl_add_u64 v[8:9], v[0:1], 0, -1
	v_cmp_ne_u32_e32 vcc, 0, v0
	; wave barrier
	s_nop 1
	v_xor_b32_e32 v8, vcc_lo, v8
	v_xor_b32_e32 v0, vcc_hi, v9
	v_and_b32_e32 v89, exec_lo, v8
	v_lshlrev_b32_e32 v9, 30, v88
	v_mov_b32_e32 v8, v1
	v_cmp_gt_i64_e32 vcc, 0, v[8:9]
	v_not_b32_e32 v8, v9
	v_ashrrev_i32_e32 v8, 31, v8
	v_and_b32_e32 v0, exec_hi, v0
	v_xor_b32_e32 v9, vcc_hi, v8
	v_xor_b32_e32 v8, vcc_lo, v8
	v_and_b32_e32 v0, v0, v9
	v_and_b32_e32 v89, v89, v8
	v_lshlrev_b32_e32 v9, 29, v88
	v_mov_b32_e32 v8, v1
	v_cmp_gt_i64_e32 vcc, 0, v[8:9]
	v_not_b32_e32 v8, v9
	v_ashrrev_i32_e32 v8, 31, v8
	v_xor_b32_e32 v9, vcc_hi, v8
	v_xor_b32_e32 v8, vcc_lo, v8
	v_and_b32_e32 v0, v0, v9
	v_and_b32_e32 v89, v89, v8
	v_lshlrev_b32_e32 v9, 28, v88
	v_mov_b32_e32 v8, v1
	v_cmp_gt_i64_e32 vcc, 0, v[8:9]
	v_not_b32_e32 v8, v9
	v_ashrrev_i32_e32 v8, 31, v8
	;; [unrolled: 9-line block ×6, first 2 shown]
	v_xor_b32_e32 v9, vcc_hi, v8
	v_xor_b32_e32 v8, vcc_lo, v8
	ds_read_b32 v86, v87 offset:16
	v_and_b32_e32 v8, v89, v8
	v_and_b32_e32 v9, v0, v9
	v_mbcnt_lo_u32_b32 v0, v8, 0
	v_mbcnt_hi_u32_b32 v89, v9, v0
	v_cmp_eq_u32_e32 vcc, 0, v89
	v_cmp_ne_u64_e64 s[0:1], 0, v[8:9]
	s_and_b64 s[4:5], s[0:1], vcc
	; wave barrier
	s_and_saveexec_b64 s[0:1], s[4:5]
	s_cbranch_execz .LBB24_323
; %bb.322:
	v_bcnt_u32_b32 v0, v8, 0
	v_bcnt_u32_b32 v0, v9, v0
	s_waitcnt lgkmcnt(0)
	v_add_u32_e32 v0, v86, v0
	ds_write_b32 v87, v0 offset:16
.LBB24_323:
	s_or_b64 exec, exec, s[0:1]
	s_waitcnt vmcnt(2)
	v_xor_b32_e32 v88, 0x80000000, v31
	v_lshrrev_b32_e32 v0, s8, v88
	v_and_b32_e32 v91, s9, v0
	v_mul_lo_u32 v0, v91, 20
	v_lshl_add_u32 v31, v21, 2, v0
	v_and_b32_e32 v0, 1, v91
	v_lshl_add_u64 v[8:9], v[0:1], 0, -1
	v_cmp_ne_u32_e32 vcc, 0, v0
	; wave barrier
	s_nop 1
	v_xor_b32_e32 v8, vcc_lo, v8
	v_xor_b32_e32 v0, vcc_hi, v9
	v_and_b32_e32 v92, exec_lo, v8
	v_lshlrev_b32_e32 v9, 30, v91
	v_mov_b32_e32 v8, v1
	v_cmp_gt_i64_e32 vcc, 0, v[8:9]
	v_not_b32_e32 v8, v9
	v_ashrrev_i32_e32 v8, 31, v8
	v_and_b32_e32 v0, exec_hi, v0
	v_xor_b32_e32 v9, vcc_hi, v8
	v_xor_b32_e32 v8, vcc_lo, v8
	v_and_b32_e32 v0, v0, v9
	v_and_b32_e32 v92, v92, v8
	v_lshlrev_b32_e32 v9, 29, v91
	v_mov_b32_e32 v8, v1
	v_cmp_gt_i64_e32 vcc, 0, v[8:9]
	v_not_b32_e32 v8, v9
	v_ashrrev_i32_e32 v8, 31, v8
	v_xor_b32_e32 v9, vcc_hi, v8
	v_xor_b32_e32 v8, vcc_lo, v8
	v_and_b32_e32 v0, v0, v9
	v_and_b32_e32 v92, v92, v8
	v_lshlrev_b32_e32 v9, 28, v91
	v_mov_b32_e32 v8, v1
	v_cmp_gt_i64_e32 vcc, 0, v[8:9]
	v_not_b32_e32 v8, v9
	v_ashrrev_i32_e32 v8, 31, v8
	;; [unrolled: 9-line block ×5, first 2 shown]
	v_xor_b32_e32 v9, vcc_hi, v8
	v_xor_b32_e32 v8, vcc_lo, v8
	v_and_b32_e32 v0, v0, v9
	v_lshlrev_b32_e32 v9, 24, v91
	v_and_b32_e32 v92, v92, v8
	v_mov_b32_e32 v8, v1
	v_not_b32_e32 v1, v9
	v_cmp_gt_i64_e32 vcc, 0, v[8:9]
	v_ashrrev_i32_e32 v1, 31, v1
	ds_read_b32 v90, v31 offset:16
	v_xor_b32_e32 v8, vcc_hi, v1
	v_xor_b32_e32 v9, vcc_lo, v1
	v_and_b32_e32 v1, v0, v8
	v_and_b32_e32 v0, v92, v9
	v_mbcnt_lo_u32_b32 v8, v0, 0
	v_mbcnt_hi_u32_b32 v92, v1, v8
	v_cmp_eq_u32_e32 vcc, 0, v92
	v_cmp_ne_u64_e64 s[0:1], 0, v[0:1]
	s_and_b64 s[4:5], s[0:1], vcc
	; wave barrier
	s_and_saveexec_b64 s[0:1], s[4:5]
	s_cbranch_execz .LBB24_325
; %bb.324:
	v_bcnt_u32_b32 v0, v0, 0
	v_bcnt_u32_b32 v0, v1, v0
	s_waitcnt lgkmcnt(0)
	v_add_u32_e32 v0, v90, v0
	ds_write_b32 v31, v0 offset:16
.LBB24_325:
	s_or_b64 exec, exec, s[0:1]
	s_waitcnt vmcnt(1)
	v_xor_b32_e32 v91, 0x80000000, v26
	v_lshrrev_b32_e32 v0, s8, v91
	v_and_b32_e32 v94, s9, v0
	v_mul_lo_u32 v0, v94, 20
	v_lshl_add_u32 v26, v21, 2, v0
	v_and_b32_e32 v0, 1, v94
	v_mov_b32_e32 v1, 0
	v_lshl_add_u64 v[8:9], v[0:1], 0, -1
	v_cmp_ne_u32_e32 vcc, 0, v0
	; wave barrier
	s_nop 1
	v_xor_b32_e32 v8, vcc_lo, v8
	v_xor_b32_e32 v0, vcc_hi, v9
	v_and_b32_e32 v95, exec_lo, v8
	v_lshlrev_b32_e32 v9, 30, v94
	v_mov_b32_e32 v8, v1
	v_cmp_gt_i64_e32 vcc, 0, v[8:9]
	v_not_b32_e32 v8, v9
	v_ashrrev_i32_e32 v8, 31, v8
	v_and_b32_e32 v0, exec_hi, v0
	v_xor_b32_e32 v9, vcc_hi, v8
	v_xor_b32_e32 v8, vcc_lo, v8
	v_and_b32_e32 v0, v0, v9
	v_and_b32_e32 v95, v95, v8
	v_lshlrev_b32_e32 v9, 29, v94
	v_mov_b32_e32 v8, v1
	v_cmp_gt_i64_e32 vcc, 0, v[8:9]
	v_not_b32_e32 v8, v9
	v_ashrrev_i32_e32 v8, 31, v8
	v_xor_b32_e32 v9, vcc_hi, v8
	v_xor_b32_e32 v8, vcc_lo, v8
	v_and_b32_e32 v0, v0, v9
	v_and_b32_e32 v95, v95, v8
	v_lshlrev_b32_e32 v9, 28, v94
	v_mov_b32_e32 v8, v1
	v_cmp_gt_i64_e32 vcc, 0, v[8:9]
	v_not_b32_e32 v8, v9
	v_ashrrev_i32_e32 v8, 31, v8
	;; [unrolled: 9-line block ×6, first 2 shown]
	v_xor_b32_e32 v9, vcc_hi, v8
	v_xor_b32_e32 v8, vcc_lo, v8
	ds_read_b32 v93, v26 offset:16
	v_and_b32_e32 v8, v95, v8
	v_and_b32_e32 v9, v0, v9
	v_mbcnt_lo_u32_b32 v0, v8, 0
	v_mbcnt_hi_u32_b32 v95, v9, v0
	v_cmp_eq_u32_e32 vcc, 0, v95
	v_cmp_ne_u64_e64 s[0:1], 0, v[8:9]
	s_and_b64 s[4:5], s[0:1], vcc
	; wave barrier
	s_and_saveexec_b64 s[0:1], s[4:5]
	s_cbranch_execz .LBB24_327
; %bb.326:
	v_bcnt_u32_b32 v0, v8, 0
	v_bcnt_u32_b32 v0, v9, v0
	s_waitcnt lgkmcnt(0)
	v_add_u32_e32 v0, v93, v0
	ds_write_b32 v26, v0 offset:16
.LBB24_327:
	s_or_b64 exec, exec, s[0:1]
	s_waitcnt vmcnt(0)
	v_xor_b32_e32 v94, 0x80000000, v10
	v_lshrrev_b32_e32 v0, s8, v94
	v_and_b32_e32 v10, s9, v0
	v_mul_lo_u32 v0, v10, 20
	v_lshl_add_u32 v96, v21, 2, v0
	v_and_b32_e32 v0, 1, v10
	v_lshl_add_u64 v[8:9], v[0:1], 0, -1
	v_cmp_ne_u32_e32 vcc, 0, v0
	; wave barrier
	s_nop 1
	v_xor_b32_e32 v8, vcc_lo, v8
	v_xor_b32_e32 v0, vcc_hi, v9
	v_and_b32_e32 v97, exec_lo, v8
	v_lshlrev_b32_e32 v9, 30, v10
	v_mov_b32_e32 v8, v1
	v_cmp_gt_i64_e32 vcc, 0, v[8:9]
	v_not_b32_e32 v8, v9
	v_ashrrev_i32_e32 v8, 31, v8
	v_and_b32_e32 v0, exec_hi, v0
	v_xor_b32_e32 v9, vcc_hi, v8
	v_xor_b32_e32 v8, vcc_lo, v8
	v_and_b32_e32 v0, v0, v9
	v_and_b32_e32 v97, v97, v8
	v_lshlrev_b32_e32 v9, 29, v10
	v_mov_b32_e32 v8, v1
	v_cmp_gt_i64_e32 vcc, 0, v[8:9]
	v_not_b32_e32 v8, v9
	v_ashrrev_i32_e32 v8, 31, v8
	v_xor_b32_e32 v9, vcc_hi, v8
	v_xor_b32_e32 v8, vcc_lo, v8
	v_and_b32_e32 v0, v0, v9
	v_and_b32_e32 v97, v97, v8
	v_lshlrev_b32_e32 v9, 28, v10
	v_mov_b32_e32 v8, v1
	v_cmp_gt_i64_e32 vcc, 0, v[8:9]
	v_not_b32_e32 v8, v9
	v_ashrrev_i32_e32 v8, 31, v8
	;; [unrolled: 9-line block ×5, first 2 shown]
	v_xor_b32_e32 v9, vcc_hi, v8
	v_xor_b32_e32 v8, vcc_lo, v8
	v_and_b32_e32 v0, v0, v9
	v_lshlrev_b32_e32 v9, 24, v10
	v_and_b32_e32 v97, v97, v8
	v_mov_b32_e32 v8, v1
	v_not_b32_e32 v1, v9
	v_cmp_gt_i64_e32 vcc, 0, v[8:9]
	v_ashrrev_i32_e32 v1, 31, v1
	ds_read_b32 v21, v96 offset:16
	v_xor_b32_e32 v8, vcc_hi, v1
	v_xor_b32_e32 v9, vcc_lo, v1
	v_and_b32_e32 v1, v0, v8
	v_and_b32_e32 v0, v97, v9
	v_mbcnt_lo_u32_b32 v8, v0, 0
	v_mbcnt_hi_u32_b32 v97, v1, v8
	v_cmp_eq_u32_e32 vcc, 0, v97
	v_cmp_ne_u64_e64 s[0:1], 0, v[0:1]
	s_and_b64 s[4:5], s[0:1], vcc
	; wave barrier
	s_and_saveexec_b64 s[0:1], s[4:5]
	s_cbranch_execz .LBB24_329
; %bb.328:
	v_bcnt_u32_b32 v0, v0, 0
	v_bcnt_u32_b32 v0, v1, v0
	s_waitcnt lgkmcnt(0)
	v_add_u32_e32 v0, v21, v0
	ds_write_b32 v96, v0 offset:16
.LBB24_329:
	s_or_b64 exec, exec, s[0:1]
	; wave barrier
	s_waitcnt lgkmcnt(0)
	s_barrier
	ds_read2_b32 v[8:9], v3 offset0:4 offset1:5
	ds_read2_b32 v[0:1], v3 offset0:6 offset1:7
	ds_read_b32 v10, v3 offset:32
	v_min_u32_e32 v7, 0xc0, v7
	v_or_b32_e32 v7, 63, v7
	s_waitcnt lgkmcnt(1)
	v_add3_u32 v98, v9, v8, v0
	s_waitcnt lgkmcnt(0)
	v_add3_u32 v10, v98, v1, v10
	v_and_b32_e32 v98, 15, v4
	v_cmp_ne_u32_e32 vcc, 0, v98
	v_mov_b32_dpp v99, v10 row_shr:1 row_mask:0xf bank_mask:0xf
	s_nop 0
	v_cndmask_b32_e32 v99, 0, v99, vcc
	v_add_u32_e32 v10, v99, v10
	v_cmp_lt_u32_e32 vcc, 1, v98
	s_nop 0
	v_mov_b32_dpp v99, v10 row_shr:2 row_mask:0xf bank_mask:0xf
	v_cndmask_b32_e32 v99, 0, v99, vcc
	v_add_u32_e32 v10, v10, v99
	v_cmp_lt_u32_e32 vcc, 3, v98
	s_nop 0
	v_mov_b32_dpp v99, v10 row_shr:4 row_mask:0xf bank_mask:0xf
	;; [unrolled: 5-line block ×3, first 2 shown]
	v_cndmask_b32_e32 v98, 0, v99, vcc
	v_add_u32_e32 v10, v10, v98
	v_bfe_i32 v99, v4, 4, 1
	v_cmp_lt_u32_e32 vcc, 31, v4
	v_mov_b32_dpp v98, v10 row_bcast:15 row_mask:0xf bank_mask:0xf
	v_and_b32_e32 v98, v99, v98
	v_add_u32_e32 v10, v10, v98
	v_lshrrev_b32_e32 v99, 6, v2
	s_nop 0
	v_mov_b32_dpp v98, v10 row_bcast:31 row_mask:0xf bank_mask:0xf
	v_cndmask_b32_e32 v98, 0, v98, vcc
	v_add_u32_e32 v98, v10, v98
	v_cmp_eq_u32_e32 vcc, v2, v7
	s_and_saveexec_b64 s[0:1], vcc
; %bb.330:
	v_lshlrev_b32_e32 v7, 2, v99
	ds_write_b32 v7, v98
; %bb.331:
	s_or_b64 exec, exec, s[0:1]
	v_cmp_gt_u32_e32 vcc, 4, v2
	v_lshlrev_b32_e32 v10, 2, v2
	s_waitcnt lgkmcnt(0)
	s_barrier
	s_and_saveexec_b64 s[0:1], vcc
	s_cbranch_execz .LBB24_333
; %bb.332:
	ds_read_b32 v7, v10
	v_and_b32_e32 v100, 3, v4
	v_cmp_ne_u32_e32 vcc, 0, v100
	s_waitcnt lgkmcnt(0)
	v_mov_b32_dpp v101, v7 row_shr:1 row_mask:0xf bank_mask:0xf
	v_cndmask_b32_e32 v101, 0, v101, vcc
	v_add_u32_e32 v7, v101, v7
	v_cmp_lt_u32_e32 vcc, 1, v100
	s_nop 0
	v_mov_b32_dpp v101, v7 row_shr:2 row_mask:0xf bank_mask:0xf
	v_cndmask_b32_e32 v100, 0, v101, vcc
	v_add_u32_e32 v7, v7, v100
	ds_write_b32 v10, v7
.LBB24_333:
	s_or_b64 exec, exec, s[0:1]
	v_cmp_lt_u32_e32 vcc, 63, v2
	v_mov_b32_e32 v7, 0
	s_waitcnt lgkmcnt(0)
	s_barrier
	s_and_saveexec_b64 s[0:1], vcc
; %bb.334:
	v_lshl_add_u32 v7, v99, 2, -4
	ds_read_b32 v7, v7
; %bb.335:
	s_or_b64 exec, exec, s[0:1]
	v_add_u32_e32 v99, -1, v4
	v_and_b32_e32 v100, 64, v4
	v_cmp_lt_i32_e32 vcc, v99, v100
	s_waitcnt lgkmcnt(0)
	v_add_u32_e32 v98, v7, v98
	s_movk_i32 s0, 0x100
	v_cndmask_b32_e32 v99, v99, v4, vcc
	v_lshlrev_b32_e32 v99, 2, v99
	ds_bpermute_b32 v98, v99, v98
	v_cmp_eq_u32_e32 vcc, 0, v4
	s_waitcnt lgkmcnt(0)
	s_nop 0
	v_cndmask_b32_e32 v7, v98, v7, vcc
	v_cmp_ne_u32_e32 vcc, 0, v2
	s_nop 1
	v_cndmask_b32_e32 v7, 0, v7, vcc
	v_add_u32_e32 v8, v7, v8
	v_add_u32_e32 v9, v8, v9
	;; [unrolled: 1-line block ×4, first 2 shown]
	ds_write2_b32 v3, v7, v8 offset0:4 offset1:5
	ds_write2_b32 v3, v9, v0 offset0:6 offset1:7
	ds_write_b32 v3, v1 offset:32
	s_waitcnt lgkmcnt(0)
	s_barrier
	ds_read_b32 v8, v46 offset:16
	ds_read_b32 v9, v51 offset:16
	;; [unrolled: 1-line block ×23, first 2 shown]
	v_add_u32_e32 v3, 1, v2
	v_cmp_ne_u32_e32 vcc, s0, v3
	v_mov_b32_e32 v1, 0x1600
	s_and_saveexec_b64 s[0:1], vcc
; %bb.336:
	v_mul_u32_u24_e32 v1, 20, v3
	ds_read_b32 v1, v1 offset:16
; %bb.337:
	s_or_b64 exec, exec, s[0:1]
	s_waitcnt lgkmcnt(7)
	v_add_u32_e32 v25, v12, v14
	s_waitcnt lgkmcnt(6)
	v_add3_u32 v26, v18, v15, v16
	v_lshlrev_b32_e32 v3, 2, v25
	s_waitcnt lgkmcnt(5)
	v_add3_u32 v23, v23, v19, v20
	s_waitcnt lgkmcnt(0)
	s_barrier
	ds_write_b32 v3, v11 offset:2048
	v_lshlrev_b32_e32 v3, 2, v26
	v_add3_u32 v24, v28, v24, v31
	ds_write_b32 v3, v13 offset:2048
	v_lshlrev_b32_e32 v3, 2, v23
	v_add3_u32 v28, v33, v29, v30
	;; [unrolled: 3-line block ×19, first 2 shown]
	ds_write_b32 v3, v88 offset:2048
	v_lshlrev_b32_e32 v3, 2, v53
	v_sub_u32_e32 v8, v1, v0
	v_lshl_add_u32 v14, s2, 8, v2
	v_mov_b32_e32 v15, 0
	ds_write_b32 v3, v91 offset:2048
	v_lshlrev_b32_e32 v3, 2, v54
	v_lshl_add_u64 v[12:13], v[14:15], 2, s[90:91]
	v_or_b32_e32 v1, 2.0, v8
	v_mov_b32_e32 v7, v5
	ds_write_b32 v3, v94 offset:2048
	s_waitcnt lgkmcnt(0)
	s_barrier
	global_store_dword v[12:13], v1, off sc1
	s_mov_b64 s[0:1], 0
	s_brev_b32 s12, -4
	v_mov_b32_e32 v1, 0
                                        ; implicit-def: $sgpr4_sgpr5
	s_branch .LBB24_340
.LBB24_338:                             ;   in Loop: Header=BB24_340 Depth=1
	s_or_b64 exec, exec, s[10:11]
.LBB24_339:                             ;   in Loop: Header=BB24_340 Depth=1
	s_or_b64 exec, exec, s[4:5]
	v_and_b32_e32 v9, 0x3fffffff, v3
	v_add_u32_e32 v1, v9, v1
	v_cmp_gt_i32_e64 s[4:5], -2.0, v3
	s_and_b64 s[10:11], exec, s[4:5]
	s_or_b64 s[0:1], s[10:11], s[0:1]
	s_andn2_b64 exec, exec, s[0:1]
	s_cbranch_execz .LBB24_345
.LBB24_340:                             ; =>This Loop Header: Depth=1
                                        ;     Child Loop BB24_343 Depth 2
	s_or_b64 s[4:5], s[4:5], exec
	s_cmp_eq_u32 s3, 0
	s_cbranch_scc1 .LBB24_344
; %bb.341:                              ;   in Loop: Header=BB24_340 Depth=1
	s_add_i32 s3, s3, -1
	v_lshl_add_u32 v14, s3, 8, v2
	v_lshl_add_u64 v[16:17], v[14:15], 2, s[90:91]
	global_load_dword v3, v[16:17], off sc1
	s_waitcnt vmcnt(0)
	v_cmp_gt_u32_e32 vcc, 2.0, v3
	s_and_saveexec_b64 s[4:5], vcc
	s_cbranch_execz .LBB24_339
; %bb.342:                              ;   in Loop: Header=BB24_340 Depth=1
	s_mov_b64 s[10:11], 0
.LBB24_343:                             ;   Parent Loop BB24_340 Depth=1
                                        ; =>  This Inner Loop Header: Depth=2
	global_load_dword v3, v[16:17], off sc1
	s_waitcnt vmcnt(0)
	v_cmp_lt_u32_e32 vcc, s12, v3
	s_or_b64 s[10:11], vcc, s[10:11]
	s_andn2_b64 exec, exec, s[10:11]
	s_cbranch_execnz .LBB24_343
	s_branch .LBB24_338
.LBB24_344:                             ;   in Loop: Header=BB24_340 Depth=1
                                        ; implicit-def: $sgpr3
	s_and_b64 s[10:11], exec, s[4:5]
	s_or_b64 s[0:1], s[10:11], s[0:1]
	s_andn2_b64 exec, exec, s[0:1]
	s_cbranch_execnz .LBB24_340
.LBB24_345:
	s_or_b64 exec, exec, s[0:1]
	v_add_u32_e32 v3, v1, v8
	v_or_b32_e32 v3, 0x80000000, v3
	v_readlane_b32 s12, v104, 0
	v_lshlrev_b32_e32 v9, 3, v2
	global_store_dword v[12:13], v3, off sc1
	v_readlane_b32 s13, v104, 1
	v_sub_co_u32_e32 v14, vcc, v1, v0
	v_sub_u32_e32 v1, v9, v10
	s_nop 0
	v_subb_co_u32_e64 v15, s[0:1], 0, 0, vcc
	s_nop 0
	global_load_dwordx2 v[12:13], v9, s[12:13]
	v_mov_b32_e32 v3, 0
	v_mov_b32_e32 v11, v3
	v_or_b32_e32 v16, 0x1000, v10
	v_add_u32_e32 v18, 0x1400, v10
	v_add_u32_e32 v20, 0x1800, v10
	;; [unrolled: 1-line block ×3, first 2 shown]
	v_mov_b32_e32 v17, v3
	v_mov_b32_e32 v19, v3
	;; [unrolled: 1-line block ×4, first 2 shown]
	s_add_u32 s0, s96, s6
	s_addc_u32 s1, s97, 0
	v_lshl_add_u64 v[4:5], s[0:1], 0, v[4:5]
	v_lshl_add_u64 v[4:5], v[4:5], 0, v[6:7]
	s_add_i32 s7, s7, -1
	v_readlane_b32 s14, v104, 2
	v_readlane_b32 s15, v104, 3
	s_cmp_lg_u32 s2, s7
	s_waitcnt vmcnt(0)
	v_lshl_add_u64 v[12:13], v[14:15], 0, v[12:13]
	ds_write_b64 v9, v[12:13]
	s_waitcnt lgkmcnt(0)
	s_barrier
	ds_read2st64_b32 v[12:13], v1 offset0:8 offset1:12
	ds_read2st64_b32 v[14:15], v1 offset0:16 offset1:20
	;; [unrolled: 1-line block ×6, first 2 shown]
	s_waitcnt lgkmcnt(5)
	v_lshrrev_b32_e32 v22, s8, v12
	v_xor_b32_e32 v27, 0x80000000, v12
	v_lshrrev_b32_e32 v12, s8, v13
	v_xor_b32_e32 v32, 0x80000000, v13
	s_waitcnt lgkmcnt(4)
	v_lshrrev_b32_e32 v13, s8, v14
	v_xor_b32_e32 v41, 0x80000000, v14
	v_lshrrev_b32_e32 v14, s8, v15
	v_xor_b32_e32 v42, 0x80000000, v15
	;; [unrolled: 5-line block ×3, first 2 shown]
	s_waitcnt lgkmcnt(2)
	v_lshrrev_b32_e32 v52, s8, v58
	v_lshrrev_b32_e32 v56, s8, v59
	s_waitcnt lgkmcnt(1)
	v_lshrrev_b32_e32 v57, s8, v60
	v_and_b32_e32 v22, s9, v22
	v_and_b32_e32 v12, s9, v12
	;; [unrolled: 1-line block ×9, first 2 shown]
	v_lshlrev_b32_e32 v22, 3, v22
	v_xor_b32_e32 v55, 0x80000000, v58
	v_xor_b32_e32 v74, 0x80000000, v59
	v_lshlrev_b32_e32 v75, 3, v12
	v_lshlrev_b32_e32 v76, 3, v13
	;; [unrolled: 1-line block ×8, first 2 shown]
	ds_read_b64 v[12:13], v22
	ds_read_b64 v[14:15], v75
	;; [unrolled: 1-line block ×9, first 2 shown]
	s_waitcnt lgkmcnt(8)
	v_lshl_add_u64 v[12:13], v[12:13], 2, s[94:95]
	s_waitcnt lgkmcnt(7)
	v_lshl_add_u64 v[14:15], v[14:15], 2, s[94:95]
	;; [unrolled: 2-line block ×4, first 2 shown]
	v_lshl_add_u64 v[12:13], v[12:13], 0, v[10:11]
	v_lshl_add_u64 v[14:15], v[14:15], 0, v[10:11]
	;; [unrolled: 1-line block ×4, first 2 shown]
	v_lshrrev_b32_e32 v11, s8, v61
	s_waitcnt lgkmcnt(4)
	v_lshl_add_u64 v[64:65], v[64:65], 2, s[94:95]
	s_waitcnt lgkmcnt(3)
	v_lshl_add_u64 v[66:67], v[66:67], 2, s[94:95]
	;; [unrolled: 2-line block ×4, first 2 shown]
	v_and_b32_e32 v11, s9, v11
	v_lshl_add_u64 v[16:17], v[64:65], 0, v[16:17]
	v_lshl_add_u64 v[18:19], v[66:67], 0, v[18:19]
	v_lshl_add_u64 v[20:21], v[68:69], 0, v[20:21]
	v_lshl_add_u64 v[36:37], v[70:71], 0, v[36:37]
	global_store_dword v[12:13], v27, off
	global_store_dword v[14:15], v32, off offset:1024
	global_store_dword v[56:57], v41, off offset:2048
	;; [unrolled: 1-line block ×3, first 2 shown]
	global_store_dword v[16:17], v45, off
	global_store_dword v[18:19], v50, off
	;; [unrolled: 1-line block ×4, first 2 shown]
	v_lshlrev_b32_e32 v32, 3, v11
	v_lshrrev_b32_e32 v11, s8, v62
	v_and_b32_e32 v11, s9, v11
	v_lshlrev_b32_e32 v41, 3, v11
	v_lshrrev_b32_e32 v11, s8, v63
	v_and_b32_e32 v11, s9, v11
	v_lshlrev_b32_e32 v42, 3, v11
	ds_read_b64 v[12:13], v32
	ds_read_b64 v[14:15], v41
	;; [unrolled: 1-line block ×3, first 2 shown]
	s_waitcnt lgkmcnt(3)
	v_lshl_add_u64 v[18:19], v[72:73], 2, s[94:95]
	v_or_b32_e32 v20, 0x2000, v10
	v_mov_b32_e32 v21, v3
	v_xor_b32_e32 v60, 0x80000000, v60
	v_lshl_add_u64 v[18:19], v[18:19], 0, v[20:21]
	global_store_dword v[18:19], v60, off
	s_waitcnt lgkmcnt(2)
	v_lshl_add_u64 v[12:13], v[12:13], 2, s[94:95]
	v_add_u32_e32 v18, 0x2400, v10
	v_mov_b32_e32 v19, v3
	v_xor_b32_e32 v11, 0x80000000, v61
	v_lshl_add_u64 v[12:13], v[12:13], 0, v[18:19]
	global_store_dword v[12:13], v11, off
	s_waitcnt lgkmcnt(1)
	v_lshl_add_u64 v[12:13], v[14:15], 2, s[94:95]
	v_add_u32_e32 v14, 0x2800, v10
	v_mov_b32_e32 v15, v3
	v_lshl_add_u64 v[12:13], v[12:13], 0, v[14:15]
	ds_read2st64_b32 v[14:15], v1 offset0:56 offset1:60
	v_xor_b32_e32 v11, 0x80000000, v62
	global_store_dword v[12:13], v11, off
	s_waitcnt lgkmcnt(1)
	v_lshl_add_u64 v[12:13], v[16:17], 2, s[94:95]
	v_add_u32_e32 v16, 0x2c00, v10
	v_mov_b32_e32 v17, v3
	v_xor_b32_e32 v11, 0x80000000, v63
	v_lshl_add_u64 v[12:13], v[12:13], 0, v[16:17]
	global_store_dword v[12:13], v11, off
	s_waitcnt lgkmcnt(0)
	v_lshrrev_b32_e32 v11, s8, v14
	v_and_b32_e32 v11, s9, v11
	v_lshlrev_b32_e32 v45, 3, v11
	ds_read2st64_b32 v[12:13], v1 offset0:64 offset1:68
	ds_read_b64 v[16:17], v45
	v_lshrrev_b32_e32 v11, s8, v15
	v_and_b32_e32 v11, s9, v11
	v_lshlrev_b32_e32 v50, 3, v11
	s_waitcnt lgkmcnt(1)
	v_lshrrev_b32_e32 v11, s8, v12
	v_and_b32_e32 v11, s9, v11
	v_lshlrev_b32_e32 v55, 3, v11
	v_lshrrev_b32_e32 v11, s8, v13
	v_and_b32_e32 v11, s9, v11
	v_lshlrev_b32_e32 v60, 3, v11
	ds_read_b64 v[18:19], v50
	ds_read_b64 v[20:21], v55
	;; [unrolled: 1-line block ×3, first 2 shown]
	s_waitcnt lgkmcnt(3)
	v_lshl_add_u64 v[16:17], v[16:17], 2, s[94:95]
	v_or_b32_e32 v56, 0x3000, v10
	v_mov_b32_e32 v57, v3
	v_xor_b32_e32 v14, 0x80000000, v14
	v_lshl_add_u64 v[16:17], v[16:17], 0, v[56:57]
	global_store_dword v[16:17], v14, off
	v_xor_b32_e32 v11, 0x80000000, v15
	s_waitcnt lgkmcnt(2)
	v_lshl_add_u64 v[14:15], v[18:19], 2, s[94:95]
	v_add_u32_e32 v16, 0x3400, v10
	v_mov_b32_e32 v17, v3
	v_lshl_add_u64 v[14:15], v[14:15], 0, v[16:17]
	global_store_dword v[14:15], v11, off
	s_waitcnt lgkmcnt(1)
	v_lshl_add_u64 v[14:15], v[20:21], 2, s[94:95]
	v_add_u32_e32 v16, 0x3800, v10
	v_xor_b32_e32 v11, 0x80000000, v12
	v_lshl_add_u64 v[14:15], v[14:15], 0, v[16:17]
	global_store_dword v[14:15], v11, off
	ds_read2st64_b32 v[14:15], v1 offset0:72 offset1:76
	v_xor_b32_e32 v16, 0x80000000, v13
	s_waitcnt lgkmcnt(1)
	v_lshl_add_u64 v[12:13], v[36:37], 2, s[94:95]
	v_add_u32_e32 v10, 0x3c00, v10
	v_mov_b32_e32 v11, v3
	v_lshl_add_u64 v[10:11], v[12:13], 0, v[10:11]
	global_store_dword v[10:11], v16, off
	s_waitcnt lgkmcnt(0)
	v_lshrrev_b32_e32 v11, s8, v14
	v_and_b32_e32 v11, s9, v11
	v_lshlrev_b32_e32 v61, 3, v11
	ds_read2st64_b32 v[16:17], v1 offset0:80 offset1:84
	ds_read_b64 v[12:13], v61
	v_lshrrev_b32_e32 v11, s8, v15
	v_and_b32_e32 v11, s9, v11
	v_lshlrev_b32_e32 v62, 3, v11
	s_waitcnt lgkmcnt(1)
	v_lshrrev_b32_e32 v11, s8, v16
	v_and_b32_e32 v11, s9, v11
	v_lshlrev_b32_e32 v63, 3, v11
	v_lshrrev_b32_e32 v11, s8, v17
	v_or_b32_e32 v10, 0x1000, v2
	v_and_b32_e32 v11, s9, v11
	v_lshlrev_b32_e32 v64, 3, v11
	ds_read_b64 v[18:19], v62
	ds_read_b64 v[20:21], v63
	;; [unrolled: 1-line block ×3, first 2 shown]
	s_waitcnt lgkmcnt(3)
	v_lshl_add_u64 v[12:13], v[12:13], 2, s[94:95]
	v_lshlrev_b32_e32 v56, 2, v10
	v_xor_b32_e32 v14, 0x80000000, v14
	v_lshl_add_u64 v[12:13], v[12:13], 0, v[56:57]
	global_store_dword v[12:13], v14, off
	v_add_u32_e32 v12, 0x1100, v2
	v_xor_b32_e32 v11, 0x80000000, v15
	s_waitcnt lgkmcnt(2)
	v_lshl_add_u64 v[14:15], v[18:19], 2, s[94:95]
	v_lshlrev_b32_e32 v18, 2, v12
	v_mov_b32_e32 v19, v3
	v_lshl_add_u64 v[14:15], v[14:15], 0, v[18:19]
	global_store_dword v[14:15], v11, off
	v_add_u32_e32 v14, 0x1200, v2
	s_waitcnt lgkmcnt(1)
	v_lshl_add_u64 v[18:19], v[20:21], 2, s[94:95]
	v_lshlrev_b32_e32 v20, 2, v14
	v_mov_b32_e32 v21, v3
	v_xor_b32_e32 v11, 0x80000000, v16
	v_lshl_add_u64 v[18:19], v[18:19], 0, v[20:21]
	global_store_dword v[18:19], v11, off
	s_waitcnt lgkmcnt(0)
	v_lshl_add_u64 v[18:19], v[36:37], 2, s[94:95]
	ds_read2st64_b32 v[36:37], v1 offset0:88 offset1:92
	v_add_u32_e32 v16, 0x1300, v2
	v_lshlrev_b32_e32 v20, 2, v16
	v_lshl_add_u64 v[18:19], v[18:19], 0, v[20:21]
	v_xor_b32_e32 v11, 0x80000000, v17
	s_waitcnt lgkmcnt(0)
	v_lshrrev_b32_e32 v1, s8, v36
	v_and_b32_e32 v1, s9, v1
	v_lshlrev_b32_e32 v27, 3, v1
	ds_read_b64 v[20:21], v27
	v_lshrrev_b32_e32 v1, s8, v37
	v_and_b32_e32 v1, s9, v1
	v_lshlrev_b32_e32 v65, 3, v1
	ds_read_b64 v[56:57], v65
	global_store_dword v[18:19], v11, off
	v_or_b32_e32 v18, 0x1400, v2
	s_waitcnt lgkmcnt(1)
	v_lshl_add_u64 v[20:21], v[20:21], 2, s[94:95]
	v_lshlrev_b32_e32 v58, 2, v18
	v_mov_b32_e32 v59, v3
	v_xor_b32_e32 v11, 0x80000000, v36
	v_lshl_add_u64 v[20:21], v[20:21], 0, v[58:59]
	global_store_dword v[20:21], v11, off
	v_add_u32_e32 v20, 0x1500, v2
	v_xor_b32_e32 v1, 0x80000000, v37
	s_waitcnt lgkmcnt(0)
	v_lshl_add_u64 v[36:37], v[56:57], 2, s[94:95]
	v_lshlrev_b32_e32 v56, 2, v20
	v_mov_b32_e32 v57, v3
	v_lshl_add_u64 v[36:37], v[36:37], 0, v[56:57]
	global_store_dword v[36:37], v1, off
	global_load_ubyte v6, v[4:5], off
	global_load_ubyte v7, v[4:5], off offset:64
	s_nop 0
	global_load_ubyte v36, v[4:5], off offset:128
	global_load_ubyte v37, v[4:5], off offset:192
	;; [unrolled: 1-line block ×20, first 2 shown]
	s_barrier
	s_waitcnt vmcnt(21)
	ds_write_b8 v25, v6 offset:2048
	s_waitcnt vmcnt(20)
	ds_write_b8 v26, v7 offset:2048
	;; [unrolled: 2-line block ×22, first 2 shown]
	s_waitcnt lgkmcnt(0)
	s_barrier
	ds_read_b64 v[4:5], v22
	ds_read_u8 v30, v2 offset:2048
	ds_read_b64 v[6:7], v75
	ds_read_b64 v[22:23], v76
	;; [unrolled: 1-line block ×3, first 2 shown]
	s_waitcnt lgkmcnt(4)
	v_lshl_add_u64 v[4:5], s[98:99], 0, v[4:5]
	v_lshl_add_u64 v[4:5], v[4:5], 0, v[2:3]
	ds_read_u8 v31, v2 offset:2304
	ds_read_b64 v[26:27], v27
	ds_read_b64 v[28:29], v65
	s_waitcnt lgkmcnt(6)
	global_store_byte v[4:5], v30, off
	s_waitcnt lgkmcnt(5)
	v_lshl_add_u64 v[4:5], s[98:99], 0, v[6:7]
	v_lshl_add_u64 v[4:5], v[4:5], 0, v[2:3]
	s_waitcnt lgkmcnt(2)
	global_store_byte v[4:5], v31, off offset:256
	v_lshl_add_u64 v[4:5], s[98:99], 0, v[22:23]
	v_lshl_add_u64 v[4:5], v[4:5], 0, v[2:3]
	ds_read_u8 v6, v2 offset:2560
	ds_read_u8 v22, v2 offset:2816
	;; [unrolled: 1-line block ×8, first 2 shown]
	s_waitcnt lgkmcnt(7)
	global_store_byte v[4:5], v6, off offset:512
	v_lshl_add_u64 v[4:5], s[98:99], 0, v[24:25]
	v_lshl_add_u64 v[4:5], v[4:5], 0, v[2:3]
	ds_read_b64 v[6:7], v78
	s_waitcnt lgkmcnt(7)
	global_store_byte v[4:5], v22, off offset:768
	ds_read_b64 v[4:5], v47
	ds_read_b64 v[22:23], v52
	;; [unrolled: 1-line block ×3, first 2 shown]
	v_mov_b32_e32 v11, v3
	v_mov_b32_e32 v13, v3
	s_waitcnt lgkmcnt(3)
	v_lshl_add_u64 v[6:7], s[98:99], 0, v[6:7]
	s_waitcnt lgkmcnt(2)
	v_lshl_add_u64 v[4:5], s[98:99], 0, v[4:5]
	v_lshl_add_u64 v[6:7], v[6:7], 0, v[2:3]
	;; [unrolled: 1-line block ×3, first 2 shown]
	global_store_byte v[6:7], v30, off offset:1024
	global_store_byte v[4:5], v31, off offset:1280
	s_waitcnt lgkmcnt(1)
	v_lshl_add_u64 v[4:5], s[98:99], 0, v[22:23]
	v_lshl_add_u64 v[4:5], v[4:5], 0, v[2:3]
	global_store_byte v[4:5], v33, off offset:1536
	s_waitcnt lgkmcnt(0)
	v_lshl_add_u64 v[4:5], s[98:99], 0, v[24:25]
	v_lshl_add_u64 v[4:5], v[4:5], 0, v[2:3]
	ds_read_b64 v[6:7], v80
	global_store_byte v[4:5], v34, off offset:1792
	ds_read_b64 v[4:5], v32
	ds_read_b64 v[22:23], v41
	;; [unrolled: 1-line block ×3, first 2 shown]
	v_mov_b32_e32 v15, v3
	v_mov_b32_e32 v17, v3
	s_waitcnt lgkmcnt(3)
	v_lshl_add_u64 v[6:7], s[98:99], 0, v[6:7]
	s_waitcnt lgkmcnt(2)
	v_lshl_add_u64 v[4:5], s[98:99], 0, v[4:5]
	v_lshl_add_u64 v[6:7], v[6:7], 0, v[2:3]
	;; [unrolled: 1-line block ×3, first 2 shown]
	global_store_byte v[6:7], v35, off offset:2048
	global_store_byte v[4:5], v36, off offset:2304
	s_waitcnt lgkmcnt(1)
	v_lshl_add_u64 v[4:5], s[98:99], 0, v[22:23]
	v_lshl_add_u64 v[4:5], v[4:5], 0, v[2:3]
	ds_read_u8 v6, v2 offset:4608
	ds_read_u8 v22, v2 offset:4864
	;; [unrolled: 1-line block ×8, first 2 shown]
	s_waitcnt lgkmcnt(7)
	global_store_byte v[4:5], v6, off offset:2560
	v_lshl_add_u64 v[4:5], s[98:99], 0, v[24:25]
	v_lshl_add_u64 v[4:5], v[4:5], 0, v[2:3]
	ds_read_b64 v[6:7], v45
	s_waitcnt lgkmcnt(7)
	global_store_byte v[4:5], v22, off offset:2816
	ds_read_b64 v[4:5], v50
	ds_read_b64 v[22:23], v55
	;; [unrolled: 1-line block ×3, first 2 shown]
	v_mov_b32_e32 v19, v3
	v_mov_b32_e32 v21, v3
	s_waitcnt lgkmcnt(3)
	v_lshl_add_u64 v[6:7], s[98:99], 0, v[6:7]
	s_waitcnt lgkmcnt(2)
	v_lshl_add_u64 v[4:5], s[98:99], 0, v[4:5]
	v_lshl_add_u64 v[6:7], v[6:7], 0, v[2:3]
	;; [unrolled: 1-line block ×3, first 2 shown]
	global_store_byte v[6:7], v30, off offset:3072
	global_store_byte v[4:5], v31, off offset:3328
	s_waitcnt lgkmcnt(1)
	v_lshl_add_u64 v[4:5], s[98:99], 0, v[22:23]
	ds_read_b64 v[6:7], v61
	v_lshl_add_u64 v[4:5], v[4:5], 0, v[2:3]
	global_store_byte v[4:5], v32, off offset:3584
	s_waitcnt lgkmcnt(1)
	v_lshl_add_u64 v[4:5], s[98:99], 0, v[24:25]
	v_lshl_add_u64 v[4:5], v[4:5], 0, v[2:3]
	global_store_byte v[4:5], v33, off offset:3840
	ds_read_b64 v[4:5], v62
	ds_read_b64 v[22:23], v63
	;; [unrolled: 1-line block ×3, first 2 shown]
	s_waitcnt lgkmcnt(3)
	v_lshl_add_u64 v[6:7], s[98:99], 0, v[6:7]
	v_lshl_add_u64 v[6:7], v[6:7], 0, v[10:11]
	global_store_byte v[6:7], v34, off
	ds_read_u8 v6, v2 offset:6656
	s_waitcnt lgkmcnt(3)
	v_lshl_add_u64 v[4:5], s[98:99], 0, v[4:5]
	v_lshl_add_u64 v[4:5], v[4:5], 0, v[12:13]
	global_store_byte v[4:5], v35, off
	s_waitcnt lgkmcnt(2)
	v_lshl_add_u64 v[4:5], s[98:99], 0, v[22:23]
	v_lshl_add_u64 v[4:5], v[4:5], 0, v[14:15]
	ds_read_u8 v7, v2 offset:6912
	ds_read_u8 v10, v2 offset:7168
	;; [unrolled: 1-line block ×3, first 2 shown]
	s_waitcnt lgkmcnt(3)
	global_store_byte v[4:5], v6, off
	v_lshl_add_u64 v[4:5], s[98:99], 0, v[24:25]
	v_lshl_add_u64 v[4:5], v[4:5], 0, v[16:17]
	s_waitcnt lgkmcnt(2)
	global_store_byte v[4:5], v7, off
	v_lshl_add_u64 v[4:5], s[98:99], 0, v[26:27]
	v_lshl_add_u64 v[4:5], v[4:5], 0, v[18:19]
	;; [unrolled: 4-line block ×3, first 2 shown]
	s_waitcnt lgkmcnt(0)
	global_store_byte v[4:5], v11, off
	s_cbranch_scc1 .LBB24_347
; %bb.346:
	ds_read_b64 v[4:5], v9
	v_mov_b32_e32 v1, v3
	v_mov_b32_e32 v9, v3
	v_lshl_add_u64 v[0:1], v[8:9], 0, v[0:1]
	v_lshlrev_b32_e32 v2, 3, v2
	s_waitcnt lgkmcnt(0)
	v_lshl_add_u64 v[0:1], v[0:1], 0, v[4:5]
	global_store_dwordx2 v2, v[0:1], s[14:15]
.LBB24_347:
	s_endpgm
	.section	.rodata,"a",@progbits
	.p2align	6, 0x0
	.amdhsa_kernel _ZN7rocprim17ROCPRIM_304000_NS6detail25onesweep_iteration_kernelINS1_34wrapped_radix_sort_onesweep_configINS0_14default_configEiN2at4cuda3cub6detail10OpaqueTypeILi1EEEEELb0EPKiPiPKSA_PSA_mNS0_19identity_decomposerEEEvT1_T2_T3_T4_jPT5_SO_PNS1_23onesweep_lookback_stateET6_jjj
		.amdhsa_group_segment_fixed_size 24576
		.amdhsa_private_segment_fixed_size 0
		.amdhsa_kernarg_size 336
		.amdhsa_user_sgpr_count 2
		.amdhsa_user_sgpr_dispatch_ptr 0
		.amdhsa_user_sgpr_queue_ptr 0
		.amdhsa_user_sgpr_kernarg_segment_ptr 1
		.amdhsa_user_sgpr_dispatch_id 0
		.amdhsa_user_sgpr_kernarg_preload_length 0
		.amdhsa_user_sgpr_kernarg_preload_offset 0
		.amdhsa_user_sgpr_private_segment_size 0
		.amdhsa_uses_dynamic_stack 0
		.amdhsa_enable_private_segment 0
		.amdhsa_system_sgpr_workgroup_id_x 1
		.amdhsa_system_sgpr_workgroup_id_y 0
		.amdhsa_system_sgpr_workgroup_id_z 0
		.amdhsa_system_sgpr_workgroup_info 0
		.amdhsa_system_vgpr_workitem_id 2
		.amdhsa_next_free_vgpr 105
		.amdhsa_next_free_sgpr 100
		.amdhsa_accum_offset 108
		.amdhsa_reserve_vcc 1
		.amdhsa_float_round_mode_32 0
		.amdhsa_float_round_mode_16_64 0
		.amdhsa_float_denorm_mode_32 3
		.amdhsa_float_denorm_mode_16_64 3
		.amdhsa_dx10_clamp 1
		.amdhsa_ieee_mode 1
		.amdhsa_fp16_overflow 0
		.amdhsa_tg_split 0
		.amdhsa_exception_fp_ieee_invalid_op 0
		.amdhsa_exception_fp_denorm_src 0
		.amdhsa_exception_fp_ieee_div_zero 0
		.amdhsa_exception_fp_ieee_overflow 0
		.amdhsa_exception_fp_ieee_underflow 0
		.amdhsa_exception_fp_ieee_inexact 0
		.amdhsa_exception_int_div_zero 0
	.end_amdhsa_kernel
	.section	.text._ZN7rocprim17ROCPRIM_304000_NS6detail25onesweep_iteration_kernelINS1_34wrapped_radix_sort_onesweep_configINS0_14default_configEiN2at4cuda3cub6detail10OpaqueTypeILi1EEEEELb0EPKiPiPKSA_PSA_mNS0_19identity_decomposerEEEvT1_T2_T3_T4_jPT5_SO_PNS1_23onesweep_lookback_stateET6_jjj,"axG",@progbits,_ZN7rocprim17ROCPRIM_304000_NS6detail25onesweep_iteration_kernelINS1_34wrapped_radix_sort_onesweep_configINS0_14default_configEiN2at4cuda3cub6detail10OpaqueTypeILi1EEEEELb0EPKiPiPKSA_PSA_mNS0_19identity_decomposerEEEvT1_T2_T3_T4_jPT5_SO_PNS1_23onesweep_lookback_stateET6_jjj,comdat
.Lfunc_end24:
	.size	_ZN7rocprim17ROCPRIM_304000_NS6detail25onesweep_iteration_kernelINS1_34wrapped_radix_sort_onesweep_configINS0_14default_configEiN2at4cuda3cub6detail10OpaqueTypeILi1EEEEELb0EPKiPiPKSA_PSA_mNS0_19identity_decomposerEEEvT1_T2_T3_T4_jPT5_SO_PNS1_23onesweep_lookback_stateET6_jjj, .Lfunc_end24-_ZN7rocprim17ROCPRIM_304000_NS6detail25onesweep_iteration_kernelINS1_34wrapped_radix_sort_onesweep_configINS0_14default_configEiN2at4cuda3cub6detail10OpaqueTypeILi1EEEEELb0EPKiPiPKSA_PSA_mNS0_19identity_decomposerEEEvT1_T2_T3_T4_jPT5_SO_PNS1_23onesweep_lookback_stateET6_jjj
                                        ; -- End function
	.set _ZN7rocprim17ROCPRIM_304000_NS6detail25onesweep_iteration_kernelINS1_34wrapped_radix_sort_onesweep_configINS0_14default_configEiN2at4cuda3cub6detail10OpaqueTypeILi1EEEEELb0EPKiPiPKSA_PSA_mNS0_19identity_decomposerEEEvT1_T2_T3_T4_jPT5_SO_PNS1_23onesweep_lookback_stateET6_jjj.num_vgpr, 105
	.set _ZN7rocprim17ROCPRIM_304000_NS6detail25onesweep_iteration_kernelINS1_34wrapped_radix_sort_onesweep_configINS0_14default_configEiN2at4cuda3cub6detail10OpaqueTypeILi1EEEEELb0EPKiPiPKSA_PSA_mNS0_19identity_decomposerEEEvT1_T2_T3_T4_jPT5_SO_PNS1_23onesweep_lookback_stateET6_jjj.num_agpr, 0
	.set _ZN7rocprim17ROCPRIM_304000_NS6detail25onesweep_iteration_kernelINS1_34wrapped_radix_sort_onesweep_configINS0_14default_configEiN2at4cuda3cub6detail10OpaqueTypeILi1EEEEELb0EPKiPiPKSA_PSA_mNS0_19identity_decomposerEEEvT1_T2_T3_T4_jPT5_SO_PNS1_23onesweep_lookback_stateET6_jjj.numbered_sgpr, 100
	.set _ZN7rocprim17ROCPRIM_304000_NS6detail25onesweep_iteration_kernelINS1_34wrapped_radix_sort_onesweep_configINS0_14default_configEiN2at4cuda3cub6detail10OpaqueTypeILi1EEEEELb0EPKiPiPKSA_PSA_mNS0_19identity_decomposerEEEvT1_T2_T3_T4_jPT5_SO_PNS1_23onesweep_lookback_stateET6_jjj.num_named_barrier, 0
	.set _ZN7rocprim17ROCPRIM_304000_NS6detail25onesweep_iteration_kernelINS1_34wrapped_radix_sort_onesweep_configINS0_14default_configEiN2at4cuda3cub6detail10OpaqueTypeILi1EEEEELb0EPKiPiPKSA_PSA_mNS0_19identity_decomposerEEEvT1_T2_T3_T4_jPT5_SO_PNS1_23onesweep_lookback_stateET6_jjj.private_seg_size, 0
	.set _ZN7rocprim17ROCPRIM_304000_NS6detail25onesweep_iteration_kernelINS1_34wrapped_radix_sort_onesweep_configINS0_14default_configEiN2at4cuda3cub6detail10OpaqueTypeILi1EEEEELb0EPKiPiPKSA_PSA_mNS0_19identity_decomposerEEEvT1_T2_T3_T4_jPT5_SO_PNS1_23onesweep_lookback_stateET6_jjj.uses_vcc, 1
	.set _ZN7rocprim17ROCPRIM_304000_NS6detail25onesweep_iteration_kernelINS1_34wrapped_radix_sort_onesweep_configINS0_14default_configEiN2at4cuda3cub6detail10OpaqueTypeILi1EEEEELb0EPKiPiPKSA_PSA_mNS0_19identity_decomposerEEEvT1_T2_T3_T4_jPT5_SO_PNS1_23onesweep_lookback_stateET6_jjj.uses_flat_scratch, 0
	.set _ZN7rocprim17ROCPRIM_304000_NS6detail25onesweep_iteration_kernelINS1_34wrapped_radix_sort_onesweep_configINS0_14default_configEiN2at4cuda3cub6detail10OpaqueTypeILi1EEEEELb0EPKiPiPKSA_PSA_mNS0_19identity_decomposerEEEvT1_T2_T3_T4_jPT5_SO_PNS1_23onesweep_lookback_stateET6_jjj.has_dyn_sized_stack, 0
	.set _ZN7rocprim17ROCPRIM_304000_NS6detail25onesweep_iteration_kernelINS1_34wrapped_radix_sort_onesweep_configINS0_14default_configEiN2at4cuda3cub6detail10OpaqueTypeILi1EEEEELb0EPKiPiPKSA_PSA_mNS0_19identity_decomposerEEEvT1_T2_T3_T4_jPT5_SO_PNS1_23onesweep_lookback_stateET6_jjj.has_recursion, 0
	.set _ZN7rocprim17ROCPRIM_304000_NS6detail25onesweep_iteration_kernelINS1_34wrapped_radix_sort_onesweep_configINS0_14default_configEiN2at4cuda3cub6detail10OpaqueTypeILi1EEEEELb0EPKiPiPKSA_PSA_mNS0_19identity_decomposerEEEvT1_T2_T3_T4_jPT5_SO_PNS1_23onesweep_lookback_stateET6_jjj.has_indirect_call, 0
	.section	.AMDGPU.csdata,"",@progbits
; Kernel info:
; codeLenInByte = 32128
; TotalNumSgprs: 106
; NumVgprs: 105
; NumAgprs: 0
; TotalNumVgprs: 105
; ScratchSize: 0
; MemoryBound: 0
; FloatMode: 240
; IeeeMode: 1
; LDSByteSize: 24576 bytes/workgroup (compile time only)
; SGPRBlocks: 13
; VGPRBlocks: 13
; NumSGPRsForWavesPerEU: 106
; NumVGPRsForWavesPerEU: 105
; AccumOffset: 108
; Occupancy: 4
; WaveLimiterHint : 1
; COMPUTE_PGM_RSRC2:SCRATCH_EN: 0
; COMPUTE_PGM_RSRC2:USER_SGPR: 2
; COMPUTE_PGM_RSRC2:TRAP_HANDLER: 0
; COMPUTE_PGM_RSRC2:TGID_X_EN: 1
; COMPUTE_PGM_RSRC2:TGID_Y_EN: 0
; COMPUTE_PGM_RSRC2:TGID_Z_EN: 0
; COMPUTE_PGM_RSRC2:TIDIG_COMP_CNT: 2
; COMPUTE_PGM_RSRC3_GFX90A:ACCUM_OFFSET: 26
; COMPUTE_PGM_RSRC3_GFX90A:TG_SPLIT: 0
	.section	.text._ZN7rocprim17ROCPRIM_304000_NS6detail25onesweep_iteration_kernelINS1_34wrapped_radix_sort_onesweep_configINS0_14default_configEiN2at4cuda3cub6detail10OpaqueTypeILi1EEEEELb0EPiSC_PSA_SD_mNS0_19identity_decomposerEEEvT1_T2_T3_T4_jPT5_SK_PNS1_23onesweep_lookback_stateET6_jjj,"axG",@progbits,_ZN7rocprim17ROCPRIM_304000_NS6detail25onesweep_iteration_kernelINS1_34wrapped_radix_sort_onesweep_configINS0_14default_configEiN2at4cuda3cub6detail10OpaqueTypeILi1EEEEELb0EPiSC_PSA_SD_mNS0_19identity_decomposerEEEvT1_T2_T3_T4_jPT5_SK_PNS1_23onesweep_lookback_stateET6_jjj,comdat
	.protected	_ZN7rocprim17ROCPRIM_304000_NS6detail25onesweep_iteration_kernelINS1_34wrapped_radix_sort_onesweep_configINS0_14default_configEiN2at4cuda3cub6detail10OpaqueTypeILi1EEEEELb0EPiSC_PSA_SD_mNS0_19identity_decomposerEEEvT1_T2_T3_T4_jPT5_SK_PNS1_23onesweep_lookback_stateET6_jjj ; -- Begin function _ZN7rocprim17ROCPRIM_304000_NS6detail25onesweep_iteration_kernelINS1_34wrapped_radix_sort_onesweep_configINS0_14default_configEiN2at4cuda3cub6detail10OpaqueTypeILi1EEEEELb0EPiSC_PSA_SD_mNS0_19identity_decomposerEEEvT1_T2_T3_T4_jPT5_SK_PNS1_23onesweep_lookback_stateET6_jjj
	.globl	_ZN7rocprim17ROCPRIM_304000_NS6detail25onesweep_iteration_kernelINS1_34wrapped_radix_sort_onesweep_configINS0_14default_configEiN2at4cuda3cub6detail10OpaqueTypeILi1EEEEELb0EPiSC_PSA_SD_mNS0_19identity_decomposerEEEvT1_T2_T3_T4_jPT5_SK_PNS1_23onesweep_lookback_stateET6_jjj
	.p2align	8
	.type	_ZN7rocprim17ROCPRIM_304000_NS6detail25onesweep_iteration_kernelINS1_34wrapped_radix_sort_onesweep_configINS0_14default_configEiN2at4cuda3cub6detail10OpaqueTypeILi1EEEEELb0EPiSC_PSA_SD_mNS0_19identity_decomposerEEEvT1_T2_T3_T4_jPT5_SK_PNS1_23onesweep_lookback_stateET6_jjj,@function
_ZN7rocprim17ROCPRIM_304000_NS6detail25onesweep_iteration_kernelINS1_34wrapped_radix_sort_onesweep_configINS0_14default_configEiN2at4cuda3cub6detail10OpaqueTypeILi1EEEEELb0EPiSC_PSA_SD_mNS0_19identity_decomposerEEEvT1_T2_T3_T4_jPT5_SK_PNS1_23onesweep_lookback_stateET6_jjj: ; @_ZN7rocprim17ROCPRIM_304000_NS6detail25onesweep_iteration_kernelINS1_34wrapped_radix_sort_onesweep_configINS0_14default_configEiN2at4cuda3cub6detail10OpaqueTypeILi1EEEEELb0EPiSC_PSA_SD_mNS0_19identity_decomposerEEEvT1_T2_T3_T4_jPT5_SK_PNS1_23onesweep_lookback_stateET6_jjj
; %bb.0:
	s_load_dwordx8 s[92:99], s[0:1], 0x0
	s_load_dwordx4 s[8:11], s[0:1], 0x44
	s_load_dwordx4 s[4:7], s[0:1], 0x28
                                        ; implicit-def: $vgpr104 : SGPR spill to VGPR lane
	s_load_dwordx2 s[90:91], s[0:1], 0x38
	s_mov_b32 s3, s2
	v_mbcnt_lo_u32_b32 v1, -1, 0
	s_waitcnt lgkmcnt(0)
	s_cmp_ge_u32 s2, s10
	v_writelane_b32 v104, s4, 0
	s_nop 1
	v_writelane_b32 v104, s5, 1
	v_writelane_b32 v104, s6, 2
	;; [unrolled: 1-line block ×3, first 2 shown]
	s_mov_b64 s[4:5], -1
	s_mul_i32 s6, s2, 0x1600
	s_cbranch_scc0 .LBB25_284
; %bb.1:
	s_load_dword s11, s[0:1], 0x20
	s_mulk_i32 s10, 0xea00
	s_mov_b32 s7, 0
	s_lshl_b64 s[4:5], s[6:7], 2
	v_mbcnt_hi_u32_b32 v4, -1, v1
	s_waitcnt lgkmcnt(0)
	s_add_i32 s7, s10, s11
	s_add_u32 s4, s92, s4
	v_and_b32_e32 v7, 0xc0, v0
	v_mov_b32_e32 v5, 0
	s_addc_u32 s5, s93, s5
	v_mul_u32_u24_e32 v6, 22, v7
	v_lshlrev_b32_e32 v8, 2, v4
	v_mov_b32_e32 v9, v5
	v_lshl_add_u64 v[8:9], s[4:5], 0, v[8:9]
	v_lshlrev_b32_e32 v10, 2, v6
	v_mov_b32_e32 v11, v5
	v_mov_b32_e32 v3, -1
	v_lshl_add_u64 v[8:9], v[8:9], 0, v[10:11]
	v_or_b32_e32 v10, v4, v6
	v_mov_b32_e32 v12, -1
	v_cmp_gt_u32_e64 s[10:11], s7, v10
	s_mov_b64 s[4:5], exec
	s_nop 0
	v_writelane_b32 v104, s10, 4
	s_nop 1
	v_writelane_b32 v104, s11, 5
	s_and_b64 s[10:11], s[4:5], s[10:11]
	s_mov_b64 exec, s[10:11]
	s_cbranch_execz .LBB25_3
; %bb.2:
	global_load_dword v2, v[8:9], off
	s_waitcnt vmcnt(0)
	v_xor_b32_e32 v12, 0x80000000, v2
.LBB25_3:
	s_or_b64 exec, exec, s[4:5]
	v_add_u32_e32 v2, 64, v10
	v_cmp_gt_u32_e64 s[10:11], s7, v2
	s_mov_b64 s[4:5], exec
	s_nop 0
	v_writelane_b32 v104, s10, 6
	s_nop 1
	v_writelane_b32 v104, s11, 7
	s_and_b64 s[10:11], s[4:5], s[10:11]
	s_mov_b64 exec, s[10:11]
	s_cbranch_execz .LBB25_5
; %bb.4:
	global_load_dword v2, v[8:9], off offset:256
	s_waitcnt vmcnt(0)
	v_xor_b32_e32 v3, 0x80000000, v2
.LBB25_5:
	s_or_b64 exec, exec, s[4:5]
	v_add_u32_e32 v2, 0x80, v10
	v_mov_b32_e32 v13, -1
	v_mov_b32_e32 v14, -1
	v_cmp_gt_u32_e64 s[10:11], s7, v2
	s_mov_b64 s[4:5], exec
	s_nop 0
	v_writelane_b32 v104, s10, 8
	s_nop 1
	v_writelane_b32 v104, s11, 9
	s_and_b64 s[10:11], s[4:5], s[10:11]
	s_mov_b64 exec, s[10:11]
	s_cbranch_execz .LBB25_7
; %bb.6:
	global_load_dword v2, v[8:9], off offset:512
	s_waitcnt vmcnt(0)
	v_xor_b32_e32 v14, 0x80000000, v2
.LBB25_7:
	s_or_b64 exec, exec, s[4:5]
	v_add_u32_e32 v2, 0xc0, v10
	v_cmp_gt_u32_e64 s[10:11], s7, v2
	s_mov_b64 s[4:5], exec
	s_nop 0
	v_writelane_b32 v104, s10, 10
	s_nop 1
	v_writelane_b32 v104, s11, 11
	s_and_b64 s[10:11], s[4:5], s[10:11]
	s_mov_b64 exec, s[10:11]
	s_cbranch_execz .LBB25_9
; %bb.8:
	global_load_dword v2, v[8:9], off offset:768
	s_waitcnt vmcnt(0)
	v_xor_b32_e32 v13, 0x80000000, v2
.LBB25_9:
	s_or_b64 exec, exec, s[4:5]
	v_add_u32_e32 v2, 0x100, v10
	v_cmp_gt_u32_e64 s[4:5], s7, v2
	v_mov_b32_e32 v15, -1
	v_mov_b32_e32 v16, -1
	v_writelane_b32 v104, s4, 12
	s_nop 1
	v_writelane_b32 v104, s5, 13
	s_and_saveexec_b64 s[10:11], s[4:5]
	s_cbranch_execz .LBB25_11
; %bb.10:
	global_load_dword v2, v[8:9], off offset:1024
	s_waitcnt vmcnt(0)
	v_xor_b32_e32 v16, 0x80000000, v2
.LBB25_11:
	s_or_b64 exec, exec, s[10:11]
	v_add_u32_e32 v2, 0x140, v10
	v_cmp_gt_u32_e64 s[4:5], s7, v2
	s_nop 1
	v_writelane_b32 v104, s4, 14
	s_nop 1
	v_writelane_b32 v104, s5, 15
	s_and_saveexec_b64 s[10:11], s[4:5]
	s_cbranch_execz .LBB25_13
; %bb.12:
	global_load_dword v2, v[8:9], off offset:1280
	s_waitcnt vmcnt(0)
	v_xor_b32_e32 v15, 0x80000000, v2
.LBB25_13:
	s_or_b64 exec, exec, s[10:11]
	v_add_u32_e32 v2, 0x180, v10
	v_cmp_gt_u32_e64 s[14:15], s7, v2
	v_mov_b32_e32 v17, -1
	v_mov_b32_e32 v18, -1
	s_and_saveexec_b64 s[10:11], s[14:15]
	s_cbranch_execz .LBB25_15
; %bb.14:
	global_load_dword v2, v[8:9], off offset:1536
	s_waitcnt vmcnt(0)
	v_xor_b32_e32 v18, 0x80000000, v2
.LBB25_15:
	s_or_b64 exec, exec, s[10:11]
	v_add_u32_e32 v2, 0x1c0, v10
	v_cmp_gt_u32_e64 s[16:17], s7, v2
	s_and_saveexec_b64 s[10:11], s[16:17]
	s_cbranch_execz .LBB25_17
; %bb.16:
	global_load_dword v2, v[8:9], off offset:1792
	s_waitcnt vmcnt(0)
	v_xor_b32_e32 v17, 0x80000000, v2
.LBB25_17:
	s_or_b64 exec, exec, s[10:11]
	v_add_u32_e32 v2, 0x200, v10
	v_cmp_gt_u32_e64 s[18:19], s7, v2
	v_mov_b32_e32 v19, -1
	v_mov_b32_e32 v20, -1
	s_and_saveexec_b64 s[10:11], s[18:19]
	s_cbranch_execz .LBB25_19
; %bb.18:
	global_load_dword v2, v[8:9], off offset:2048
	s_waitcnt vmcnt(0)
	v_xor_b32_e32 v20, 0x80000000, v2
.LBB25_19:
	s_or_b64 exec, exec, s[10:11]
	v_add_u32_e32 v2, 0x240, v10
	v_cmp_gt_u32_e64 s[20:21], s7, v2
	s_and_saveexec_b64 s[10:11], s[20:21]
	s_cbranch_execz .LBB25_21
; %bb.20:
	global_load_dword v2, v[8:9], off offset:2304
	s_waitcnt vmcnt(0)
	v_xor_b32_e32 v19, 0x80000000, v2
.LBB25_21:
	s_or_b64 exec, exec, s[10:11]
	v_add_u32_e32 v2, 0x280, v10
	v_cmp_gt_u32_e64 s[22:23], s7, v2
	v_mov_b32_e32 v21, -1
	v_mov_b32_e32 v22, -1
	s_and_saveexec_b64 s[10:11], s[22:23]
	s_cbranch_execz .LBB25_23
; %bb.22:
	global_load_dword v2, v[8:9], off offset:2560
	s_waitcnt vmcnt(0)
	v_xor_b32_e32 v22, 0x80000000, v2
.LBB25_23:
	s_or_b64 exec, exec, s[10:11]
	v_add_u32_e32 v2, 0x2c0, v10
	v_cmp_gt_u32_e64 s[24:25], s7, v2
	s_and_saveexec_b64 s[10:11], s[24:25]
	s_cbranch_execz .LBB25_25
; %bb.24:
	global_load_dword v2, v[8:9], off offset:2816
	s_waitcnt vmcnt(0)
	v_xor_b32_e32 v21, 0x80000000, v2
.LBB25_25:
	s_or_b64 exec, exec, s[10:11]
	v_add_u32_e32 v2, 0x300, v10
	v_cmp_gt_u32_e64 s[26:27], s7, v2
	v_mov_b32_e32 v23, -1
	v_mov_b32_e32 v24, -1
	s_and_saveexec_b64 s[10:11], s[26:27]
	s_cbranch_execz .LBB25_27
; %bb.26:
	global_load_dword v2, v[8:9], off offset:3072
	s_waitcnt vmcnt(0)
	v_xor_b32_e32 v24, 0x80000000, v2
.LBB25_27:
	s_or_b64 exec, exec, s[10:11]
	v_add_u32_e32 v2, 0x340, v10
	v_cmp_gt_u32_e64 s[28:29], s7, v2
	s_and_saveexec_b64 s[10:11], s[28:29]
	s_cbranch_execz .LBB25_29
; %bb.28:
	global_load_dword v2, v[8:9], off offset:3328
	s_waitcnt vmcnt(0)
	v_xor_b32_e32 v23, 0x80000000, v2
.LBB25_29:
	s_or_b64 exec, exec, s[10:11]
	v_add_u32_e32 v2, 0x380, v10
	v_cmp_gt_u32_e64 s[30:31], s7, v2
	v_mov_b32_e32 v25, -1
	v_mov_b32_e32 v26, -1
	s_and_saveexec_b64 s[10:11], s[30:31]
	s_cbranch_execz .LBB25_31
; %bb.30:
	global_load_dword v2, v[8:9], off offset:3584
	s_waitcnt vmcnt(0)
	v_xor_b32_e32 v26, 0x80000000, v2
.LBB25_31:
	s_or_b64 exec, exec, s[10:11]
	v_add_u32_e32 v2, 0x3c0, v10
	v_cmp_gt_u32_e64 s[34:35], s7, v2
	s_and_saveexec_b64 s[10:11], s[34:35]
	s_cbranch_execz .LBB25_33
; %bb.32:
	global_load_dword v2, v[8:9], off offset:3840
	s_waitcnt vmcnt(0)
	v_xor_b32_e32 v25, 0x80000000, v2
.LBB25_33:
	s_or_b64 exec, exec, s[10:11]
	v_add_u32_e32 v2, 0x400, v10
	v_cmp_gt_u32_e64 s[36:37], s7, v2
	v_mov_b32_e32 v27, -1
	v_mov_b32_e32 v28, -1
	s_and_saveexec_b64 s[10:11], s[36:37]
	s_cbranch_execz .LBB25_35
; %bb.34:
	v_add_co_u32_e32 v28, vcc, 0x1000, v8
	s_nop 1
	v_addc_co_u32_e32 v29, vcc, 0, v9, vcc
	global_load_dword v2, v[28:29], off
	s_waitcnt vmcnt(0)
	v_xor_b32_e32 v28, 0x80000000, v2
.LBB25_35:
	s_or_b64 exec, exec, s[10:11]
	v_add_u32_e32 v2, 0x440, v10
	v_cmp_gt_u32_e64 s[38:39], s7, v2
	s_and_saveexec_b64 s[10:11], s[38:39]
	s_cbranch_execz .LBB25_37
; %bb.36:
	v_add_co_u32_e32 v30, vcc, 0x1000, v8
	s_nop 1
	v_addc_co_u32_e32 v31, vcc, 0, v9, vcc
	global_load_dword v2, v[30:31], off offset:256
	s_waitcnt vmcnt(0)
	v_xor_b32_e32 v27, 0x80000000, v2
.LBB25_37:
	s_or_b64 exec, exec, s[10:11]
	v_add_u32_e32 v2, 0x480, v10
	v_cmp_gt_u32_e64 s[40:41], s7, v2
	v_mov_b32_e32 v29, -1
	v_mov_b32_e32 v30, -1
	s_and_saveexec_b64 s[10:11], s[40:41]
	s_cbranch_execz .LBB25_39
; %bb.38:
	v_add_co_u32_e32 v30, vcc, 0x1000, v8
	s_nop 1
	v_addc_co_u32_e32 v31, vcc, 0, v9, vcc
	global_load_dword v2, v[30:31], off offset:512
	s_waitcnt vmcnt(0)
	v_xor_b32_e32 v30, 0x80000000, v2
.LBB25_39:
	s_or_b64 exec, exec, s[10:11]
	v_add_u32_e32 v2, 0x4c0, v10
	v_cmp_gt_u32_e64 s[42:43], s7, v2
	s_and_saveexec_b64 s[10:11], s[42:43]
	s_cbranch_execz .LBB25_41
; %bb.40:
	v_add_co_u32_e32 v32, vcc, 0x1000, v8
	s_nop 1
	v_addc_co_u32_e32 v33, vcc, 0, v9, vcc
	global_load_dword v2, v[32:33], off offset:768
	s_waitcnt vmcnt(0)
	v_xor_b32_e32 v29, 0x80000000, v2
.LBB25_41:
	s_or_b64 exec, exec, s[10:11]
	v_add_u32_e32 v2, 0x500, v10
	v_cmp_gt_u32_e64 s[44:45], s7, v2
	v_mov_b32_e32 v31, -1
	v_mov_b32_e32 v32, -1
	s_and_saveexec_b64 s[10:11], s[44:45]
	s_cbranch_execz .LBB25_43
; %bb.42:
	v_add_co_u32_e32 v32, vcc, 0x1000, v8
	s_nop 1
	v_addc_co_u32_e32 v33, vcc, 0, v9, vcc
	global_load_dword v2, v[32:33], off offset:1024
	s_waitcnt vmcnt(0)
	v_xor_b32_e32 v32, 0x80000000, v2
.LBB25_43:
	s_or_b64 exec, exec, s[10:11]
	v_add_u32_e32 v10, 0x540, v10
	v_and_b32_e32 v2, 0x3ff, v0
	v_cmp_gt_u32_e64 s[46:47], s7, v10
	s_and_saveexec_b64 s[10:11], s[46:47]
	s_cbranch_execz .LBB25_45
; %bb.44:
	v_add_co_u32_e32 v8, vcc, 0x1000, v8
	s_nop 1
	v_addc_co_u32_e32 v9, vcc, 0, v9, vcc
	global_load_dword v8, v[8:9], off offset:1280
	s_waitcnt vmcnt(0)
	v_xor_b32_e32 v31, 0x80000000, v8
.LBB25_45:
	s_or_b64 exec, exec, s[10:11]
	s_load_dword s4, s[0:1], 0x5c
	s_load_dword s10, s[0:1], 0x50
	s_add_u32 s5, s0, 0x50
	s_addc_u32 s11, s1, 0
	v_mov_b32_e32 v9, 0
	s_waitcnt lgkmcnt(0)
	s_lshr_b32 s4, s4, 16
	s_cmp_lt_u32 s2, s10
	s_cselect_b32 s10, 12, 18
	s_add_u32 s10, s5, s10
	s_addc_u32 s11, s11, 0
	global_load_ushort v48, v9, s[10:11]
	v_bfe_u32 v8, v0, 10, 10
	v_bfe_u32 v11, v0, 20, 10
	v_lshrrev_b32_e32 v35, s8, v12
	v_mad_u32_u24 v49, v11, s4, v8
	s_lshl_b32 s4, -1, s9
	v_bitop3_b32 v45, v35, s4, v35 bitop3:0x30
	v_and_b32_e32 v8, 1, v45
	v_lshlrev_b32_e32 v11, 30, v45
	v_mov_b32_e32 v10, v9
	v_mov_b32_e32 v36, v9
	v_lshlrev_b32_e32 v35, 29, v45
	v_lshlrev_b32_e32 v37, 28, v45
	v_lshl_add_u64 v[46:47], v[8:9], 0, -1
	v_cmp_ne_u32_e32 vcc, 0, v8
	v_not_b32_e32 v8, v11
	v_mov_b32_e32 v34, v9
	v_mov_b32_e32 v38, v9
	v_lshlrev_b32_e32 v39, 27, v45
	v_cmp_gt_i64_e64 s[48:49], 0, v[10:11]
	v_not_b32_e32 v10, v35
	v_cmp_gt_i64_e64 s[52:53], 0, v[36:37]
	v_not_b32_e32 v11, v37
	v_xor_b32_e32 v37, vcc_hi, v47
	v_ashrrev_i32_e32 v8, 31, v8
	v_mov_b32_e32 v40, v9
	v_lshlrev_b32_e32 v41, 26, v45
	v_cmp_gt_i64_e64 s[50:51], 0, v[34:35]
	v_cmp_gt_i64_e64 s[54:55], 0, v[38:39]
	v_not_b32_e32 v34, v39
	v_xor_b32_e32 v38, vcc_lo, v46
	v_ashrrev_i32_e32 v10, 31, v10
	v_and_b32_e32 v37, exec_hi, v37
	v_xor_b32_e32 v39, s49, v8
	v_cmp_gt_i64_e64 s[56:57], 0, v[40:41]
	v_ashrrev_i32_e32 v11, 31, v11
	v_and_b32_e32 v38, exec_lo, v38
	v_xor_b32_e32 v8, s48, v8
	v_xor_b32_e32 v40, s51, v10
	v_and_b32_e32 v37, v37, v39
	v_mov_b32_e32 v42, v9
	v_lshlrev_b32_e32 v43, 25, v45
	v_not_b32_e32 v35, v41
	v_ashrrev_i32_e32 v34, 31, v34
	v_xor_b32_e32 v10, s50, v10
	v_xor_b32_e32 v41, s53, v11
	v_and_b32_e32 v8, v38, v8
	v_and_b32_e32 v37, v37, v40
	v_cmp_gt_i64_e64 s[58:59], 0, v[42:43]
	v_not_b32_e32 v36, v43
	v_ashrrev_i32_e32 v35, 31, v35
	v_xor_b32_e32 v42, s55, v34
	v_and_b32_e32 v8, v8, v10
	v_and_b32_e32 v10, v37, v41
	v_ashrrev_i32_e32 v36, 31, v36
	v_xor_b32_e32 v11, s52, v11
	v_xor_b32_e32 v43, s57, v35
	v_and_b32_e32 v10, v10, v42
	v_xor_b32_e32 v34, s54, v34
	v_xor_b32_e32 v46, s59, v36
	v_and_b32_e32 v8, v8, v11
	v_and_b32_e32 v10, v10, v43
	v_mul_lo_u32 v50, v45, 20
	v_lshlrev_b32_e32 v45, 24, v45
	v_and_b32_e32 v8, v8, v34
	v_and_b32_e32 v34, v10, v46
	v_mov_b32_e32 v44, v9
	v_xor_b32_e32 v35, s56, v35
	v_xor_b32_e32 v36, s58, v36
	v_and_b32_e32 v8, v8, v35
	v_cmp_gt_i64_e32 vcc, 0, v[44:45]
	v_and_b32_e32 v8, v8, v36
	v_mul_u32_u24_e32 v33, 20, v2
	s_not_b32 s33, s4
	ds_write2_b32 v33, v9, v9 offset0:4 offset1:5
	ds_write2_b32 v33, v9, v9 offset0:6 offset1:7
	ds_write_b32 v33, v9 offset:32
	s_waitcnt lgkmcnt(0)
	s_barrier
	s_waitcnt vmcnt(0)
	; wave barrier
	v_mad_u64_u32 v[10:11], s[10:11], v49, v48, v[2:3]
	v_lshrrev_b32_e32 v43, 6, v10
	v_not_b32_e32 v10, v45
	v_ashrrev_i32_e32 v10, 31, v10
	v_xor_b32_e32 v11, vcc_hi, v10
	v_xor_b32_e32 v10, vcc_lo, v10
	v_and_b32_e32 v10, v8, v10
	v_and_b32_e32 v11, v34, v11
	v_mbcnt_lo_u32_b32 v8, v10, 0
	v_mbcnt_hi_u32_b32 v34, v11, v8
	v_cmp_eq_u32_e32 vcc, 0, v34
	v_cmp_ne_u64_e64 s[48:49], 0, v[10:11]
	v_lshl_add_u32 v35, v43, 2, v50
	s_and_b64 s[48:49], s[48:49], vcc
	s_and_saveexec_b64 s[10:11], s[48:49]
; %bb.46:
	v_bcnt_u32_b32 v8, v10, 0
	v_bcnt_u32_b32 v8, v11, v8
	ds_write_b32 v35, v8 offset:16
; %bb.47:
	s_or_b64 exec, exec, s[10:11]
	v_lshrrev_b32_e32 v8, s8, v3
	v_and_b32_e32 v38, s33, v8
	v_mul_lo_u32 v8, v38, 20
	v_lshl_add_u32 v37, v43, 2, v8
	v_and_b32_e32 v8, 1, v38
	v_lshl_add_u64 v[10:11], v[8:9], 0, -1
	v_cmp_ne_u32_e32 vcc, 0, v8
	; wave barrier
	s_nop 1
	v_xor_b32_e32 v10, vcc_lo, v10
	v_xor_b32_e32 v8, vcc_hi, v11
	v_and_b32_e32 v39, exec_lo, v10
	v_lshlrev_b32_e32 v11, 30, v38
	v_mov_b32_e32 v10, v9
	v_cmp_gt_i64_e32 vcc, 0, v[10:11]
	v_not_b32_e32 v10, v11
	v_ashrrev_i32_e32 v10, 31, v10
	v_and_b32_e32 v8, exec_hi, v8
	v_xor_b32_e32 v11, vcc_hi, v10
	v_xor_b32_e32 v10, vcc_lo, v10
	v_and_b32_e32 v8, v8, v11
	v_and_b32_e32 v39, v39, v10
	v_lshlrev_b32_e32 v11, 29, v38
	v_mov_b32_e32 v10, v9
	v_cmp_gt_i64_e32 vcc, 0, v[10:11]
	v_not_b32_e32 v10, v11
	v_ashrrev_i32_e32 v10, 31, v10
	v_xor_b32_e32 v11, vcc_hi, v10
	v_xor_b32_e32 v10, vcc_lo, v10
	v_and_b32_e32 v8, v8, v11
	v_and_b32_e32 v39, v39, v10
	v_lshlrev_b32_e32 v11, 28, v38
	v_mov_b32_e32 v10, v9
	v_cmp_gt_i64_e32 vcc, 0, v[10:11]
	v_not_b32_e32 v10, v11
	v_ashrrev_i32_e32 v10, 31, v10
	;; [unrolled: 9-line block ×5, first 2 shown]
	v_xor_b32_e32 v11, vcc_hi, v10
	v_xor_b32_e32 v10, vcc_lo, v10
	v_and_b32_e32 v8, v8, v11
	v_lshlrev_b32_e32 v11, 24, v38
	v_and_b32_e32 v39, v39, v10
	v_mov_b32_e32 v10, v9
	v_not_b32_e32 v9, v11
	v_cmp_gt_i64_e32 vcc, 0, v[10:11]
	v_ashrrev_i32_e32 v9, 31, v9
	ds_read_b32 v36, v37 offset:16
	v_xor_b32_e32 v10, vcc_hi, v9
	v_xor_b32_e32 v11, vcc_lo, v9
	v_and_b32_e32 v9, v8, v10
	v_and_b32_e32 v8, v39, v11
	v_mbcnt_lo_u32_b32 v10, v8, 0
	v_mbcnt_hi_u32_b32 v38, v9, v10
	v_cmp_eq_u32_e32 vcc, 0, v38
	v_cmp_ne_u64_e64 s[48:49], 0, v[8:9]
	s_and_b64 s[48:49], s[48:49], vcc
	; wave barrier
	s_and_saveexec_b64 s[10:11], s[48:49]
	s_cbranch_execz .LBB25_49
; %bb.48:
	v_bcnt_u32_b32 v8, v8, 0
	v_bcnt_u32_b32 v8, v9, v8
	s_waitcnt lgkmcnt(0)
	v_add_u32_e32 v8, v36, v8
	ds_write_b32 v37, v8 offset:16
.LBB25_49:
	s_or_b64 exec, exec, s[10:11]
	v_lshrrev_b32_e32 v8, s8, v14
	v_and_b32_e32 v41, s33, v8
	v_mul_lo_u32 v8, v41, 20
	v_lshl_add_u32 v40, v43, 2, v8
	v_and_b32_e32 v8, 1, v41
	v_mov_b32_e32 v9, 0
	v_lshl_add_u64 v[10:11], v[8:9], 0, -1
	v_cmp_ne_u32_e32 vcc, 0, v8
	; wave barrier
	s_nop 1
	v_xor_b32_e32 v10, vcc_lo, v10
	v_xor_b32_e32 v8, vcc_hi, v11
	v_and_b32_e32 v42, exec_lo, v10
	v_lshlrev_b32_e32 v11, 30, v41
	v_mov_b32_e32 v10, v9
	v_cmp_gt_i64_e32 vcc, 0, v[10:11]
	v_not_b32_e32 v10, v11
	v_ashrrev_i32_e32 v10, 31, v10
	v_and_b32_e32 v8, exec_hi, v8
	v_xor_b32_e32 v11, vcc_hi, v10
	v_xor_b32_e32 v10, vcc_lo, v10
	v_and_b32_e32 v8, v8, v11
	v_and_b32_e32 v42, v42, v10
	v_lshlrev_b32_e32 v11, 29, v41
	v_mov_b32_e32 v10, v9
	v_cmp_gt_i64_e32 vcc, 0, v[10:11]
	v_not_b32_e32 v10, v11
	v_ashrrev_i32_e32 v10, 31, v10
	v_xor_b32_e32 v11, vcc_hi, v10
	v_xor_b32_e32 v10, vcc_lo, v10
	v_and_b32_e32 v8, v8, v11
	v_and_b32_e32 v42, v42, v10
	v_lshlrev_b32_e32 v11, 28, v41
	v_mov_b32_e32 v10, v9
	v_cmp_gt_i64_e32 vcc, 0, v[10:11]
	v_not_b32_e32 v10, v11
	v_ashrrev_i32_e32 v10, 31, v10
	;; [unrolled: 9-line block ×6, first 2 shown]
	v_xor_b32_e32 v11, vcc_hi, v10
	v_xor_b32_e32 v10, vcc_lo, v10
	ds_read_b32 v39, v40 offset:16
	v_and_b32_e32 v10, v42, v10
	v_and_b32_e32 v11, v8, v11
	v_mbcnt_lo_u32_b32 v8, v10, 0
	v_mbcnt_hi_u32_b32 v41, v11, v8
	v_cmp_eq_u32_e32 vcc, 0, v41
	v_cmp_ne_u64_e64 s[48:49], 0, v[10:11]
	s_and_b64 s[48:49], s[48:49], vcc
	; wave barrier
	s_and_saveexec_b64 s[10:11], s[48:49]
	s_cbranch_execz .LBB25_51
; %bb.50:
	v_bcnt_u32_b32 v8, v10, 0
	v_bcnt_u32_b32 v8, v11, v8
	s_waitcnt lgkmcnt(0)
	v_add_u32_e32 v8, v39, v8
	ds_write_b32 v40, v8 offset:16
.LBB25_51:
	s_or_b64 exec, exec, s[10:11]
	v_lshrrev_b32_e32 v8, s8, v13
	v_and_b32_e32 v45, s33, v8
	v_mul_lo_u32 v8, v45, 20
	v_lshl_add_u32 v44, v43, 2, v8
	v_and_b32_e32 v8, 1, v45
	v_lshl_add_u64 v[10:11], v[8:9], 0, -1
	v_cmp_ne_u32_e32 vcc, 0, v8
	; wave barrier
	s_nop 1
	v_xor_b32_e32 v10, vcc_lo, v10
	v_xor_b32_e32 v8, vcc_hi, v11
	v_and_b32_e32 v46, exec_lo, v10
	v_lshlrev_b32_e32 v11, 30, v45
	v_mov_b32_e32 v10, v9
	v_cmp_gt_i64_e32 vcc, 0, v[10:11]
	v_not_b32_e32 v10, v11
	v_ashrrev_i32_e32 v10, 31, v10
	v_and_b32_e32 v8, exec_hi, v8
	v_xor_b32_e32 v11, vcc_hi, v10
	v_xor_b32_e32 v10, vcc_lo, v10
	v_and_b32_e32 v8, v8, v11
	v_and_b32_e32 v46, v46, v10
	v_lshlrev_b32_e32 v11, 29, v45
	v_mov_b32_e32 v10, v9
	v_cmp_gt_i64_e32 vcc, 0, v[10:11]
	v_not_b32_e32 v10, v11
	v_ashrrev_i32_e32 v10, 31, v10
	v_xor_b32_e32 v11, vcc_hi, v10
	v_xor_b32_e32 v10, vcc_lo, v10
	v_and_b32_e32 v8, v8, v11
	v_and_b32_e32 v46, v46, v10
	v_lshlrev_b32_e32 v11, 28, v45
	v_mov_b32_e32 v10, v9
	v_cmp_gt_i64_e32 vcc, 0, v[10:11]
	v_not_b32_e32 v10, v11
	v_ashrrev_i32_e32 v10, 31, v10
	v_xor_b32_e32 v11, vcc_hi, v10
	v_xor_b32_e32 v10, vcc_lo, v10
	v_and_b32_e32 v8, v8, v11
	v_and_b32_e32 v46, v46, v10
	v_lshlrev_b32_e32 v11, 27, v45
	v_mov_b32_e32 v10, v9
	v_cmp_gt_i64_e32 vcc, 0, v[10:11]
	v_not_b32_e32 v10, v11
	v_ashrrev_i32_e32 v10, 31, v10
	v_xor_b32_e32 v11, vcc_hi, v10
	v_xor_b32_e32 v10, vcc_lo, v10
	v_and_b32_e32 v8, v8, v11
	v_and_b32_e32 v46, v46, v10
	v_lshlrev_b32_e32 v11, 26, v45
	v_mov_b32_e32 v10, v9
	v_cmp_gt_i64_e32 vcc, 0, v[10:11]
	v_not_b32_e32 v10, v11
	v_ashrrev_i32_e32 v10, 31, v10
	v_xor_b32_e32 v11, vcc_hi, v10
	v_xor_b32_e32 v10, vcc_lo, v10
	v_and_b32_e32 v8, v8, v11
	v_and_b32_e32 v46, v46, v10
	v_lshlrev_b32_e32 v11, 25, v45
	v_mov_b32_e32 v10, v9
	v_cmp_gt_i64_e32 vcc, 0, v[10:11]
	v_not_b32_e32 v10, v11
	v_ashrrev_i32_e32 v10, 31, v10
	v_xor_b32_e32 v11, vcc_hi, v10
	v_xor_b32_e32 v10, vcc_lo, v10
	v_and_b32_e32 v8, v8, v11
	v_lshlrev_b32_e32 v11, 24, v45
	v_and_b32_e32 v46, v46, v10
	v_mov_b32_e32 v10, v9
	v_not_b32_e32 v9, v11
	v_cmp_gt_i64_e32 vcc, 0, v[10:11]
	v_ashrrev_i32_e32 v9, 31, v9
	ds_read_b32 v42, v44 offset:16
	v_xor_b32_e32 v10, vcc_hi, v9
	v_xor_b32_e32 v11, vcc_lo, v9
	v_and_b32_e32 v9, v8, v10
	v_and_b32_e32 v8, v46, v11
	v_mbcnt_lo_u32_b32 v10, v8, 0
	v_mbcnt_hi_u32_b32 v45, v9, v10
	v_cmp_eq_u32_e32 vcc, 0, v45
	v_cmp_ne_u64_e64 s[48:49], 0, v[8:9]
	s_and_b64 s[48:49], s[48:49], vcc
	; wave barrier
	s_and_saveexec_b64 s[10:11], s[48:49]
	s_cbranch_execz .LBB25_53
; %bb.52:
	v_bcnt_u32_b32 v8, v8, 0
	v_bcnt_u32_b32 v8, v9, v8
	s_waitcnt lgkmcnt(0)
	v_add_u32_e32 v8, v42, v8
	ds_write_b32 v44, v8 offset:16
.LBB25_53:
	s_or_b64 exec, exec, s[10:11]
	v_lshrrev_b32_e32 v8, s8, v16
	v_and_b32_e32 v48, s33, v8
	v_mul_lo_u32 v8, v48, 20
	v_lshl_add_u32 v47, v43, 2, v8
	v_and_b32_e32 v8, 1, v48
	v_mov_b32_e32 v9, 0
	v_lshl_add_u64 v[10:11], v[8:9], 0, -1
	v_cmp_ne_u32_e32 vcc, 0, v8
	; wave barrier
	s_nop 1
	v_xor_b32_e32 v10, vcc_lo, v10
	v_xor_b32_e32 v8, vcc_hi, v11
	v_and_b32_e32 v49, exec_lo, v10
	v_lshlrev_b32_e32 v11, 30, v48
	v_mov_b32_e32 v10, v9
	v_cmp_gt_i64_e32 vcc, 0, v[10:11]
	v_not_b32_e32 v10, v11
	v_ashrrev_i32_e32 v10, 31, v10
	v_and_b32_e32 v8, exec_hi, v8
	v_xor_b32_e32 v11, vcc_hi, v10
	v_xor_b32_e32 v10, vcc_lo, v10
	v_and_b32_e32 v8, v8, v11
	v_and_b32_e32 v49, v49, v10
	v_lshlrev_b32_e32 v11, 29, v48
	v_mov_b32_e32 v10, v9
	v_cmp_gt_i64_e32 vcc, 0, v[10:11]
	v_not_b32_e32 v10, v11
	v_ashrrev_i32_e32 v10, 31, v10
	v_xor_b32_e32 v11, vcc_hi, v10
	v_xor_b32_e32 v10, vcc_lo, v10
	v_and_b32_e32 v8, v8, v11
	v_and_b32_e32 v49, v49, v10
	v_lshlrev_b32_e32 v11, 28, v48
	v_mov_b32_e32 v10, v9
	v_cmp_gt_i64_e32 vcc, 0, v[10:11]
	v_not_b32_e32 v10, v11
	v_ashrrev_i32_e32 v10, 31, v10
	;; [unrolled: 9-line block ×6, first 2 shown]
	v_xor_b32_e32 v11, vcc_hi, v10
	v_xor_b32_e32 v10, vcc_lo, v10
	ds_read_b32 v46, v47 offset:16
	v_and_b32_e32 v10, v49, v10
	v_and_b32_e32 v11, v8, v11
	v_mbcnt_lo_u32_b32 v8, v10, 0
	v_mbcnt_hi_u32_b32 v48, v11, v8
	v_cmp_eq_u32_e32 vcc, 0, v48
	v_cmp_ne_u64_e64 s[48:49], 0, v[10:11]
	s_and_b64 s[48:49], s[48:49], vcc
	; wave barrier
	s_and_saveexec_b64 s[10:11], s[48:49]
	s_cbranch_execz .LBB25_55
; %bb.54:
	v_bcnt_u32_b32 v8, v10, 0
	v_bcnt_u32_b32 v8, v11, v8
	s_waitcnt lgkmcnt(0)
	v_add_u32_e32 v8, v46, v8
	ds_write_b32 v47, v8 offset:16
.LBB25_55:
	s_or_b64 exec, exec, s[10:11]
	v_lshrrev_b32_e32 v8, s8, v15
	v_and_b32_e32 v51, s33, v8
	v_mul_lo_u32 v8, v51, 20
	v_lshl_add_u32 v50, v43, 2, v8
	v_and_b32_e32 v8, 1, v51
	v_lshl_add_u64 v[10:11], v[8:9], 0, -1
	v_cmp_ne_u32_e32 vcc, 0, v8
	; wave barrier
	s_nop 1
	v_xor_b32_e32 v10, vcc_lo, v10
	v_xor_b32_e32 v8, vcc_hi, v11
	v_and_b32_e32 v52, exec_lo, v10
	v_lshlrev_b32_e32 v11, 30, v51
	v_mov_b32_e32 v10, v9
	v_cmp_gt_i64_e32 vcc, 0, v[10:11]
	v_not_b32_e32 v10, v11
	v_ashrrev_i32_e32 v10, 31, v10
	v_and_b32_e32 v8, exec_hi, v8
	v_xor_b32_e32 v11, vcc_hi, v10
	v_xor_b32_e32 v10, vcc_lo, v10
	v_and_b32_e32 v8, v8, v11
	v_and_b32_e32 v52, v52, v10
	v_lshlrev_b32_e32 v11, 29, v51
	v_mov_b32_e32 v10, v9
	v_cmp_gt_i64_e32 vcc, 0, v[10:11]
	v_not_b32_e32 v10, v11
	v_ashrrev_i32_e32 v10, 31, v10
	v_xor_b32_e32 v11, vcc_hi, v10
	v_xor_b32_e32 v10, vcc_lo, v10
	v_and_b32_e32 v8, v8, v11
	v_and_b32_e32 v52, v52, v10
	v_lshlrev_b32_e32 v11, 28, v51
	v_mov_b32_e32 v10, v9
	v_cmp_gt_i64_e32 vcc, 0, v[10:11]
	v_not_b32_e32 v10, v11
	v_ashrrev_i32_e32 v10, 31, v10
	;; [unrolled: 9-line block ×5, first 2 shown]
	v_xor_b32_e32 v11, vcc_hi, v10
	v_xor_b32_e32 v10, vcc_lo, v10
	v_and_b32_e32 v8, v8, v11
	v_lshlrev_b32_e32 v11, 24, v51
	v_and_b32_e32 v52, v52, v10
	v_mov_b32_e32 v10, v9
	v_not_b32_e32 v9, v11
	v_cmp_gt_i64_e32 vcc, 0, v[10:11]
	v_ashrrev_i32_e32 v9, 31, v9
	ds_read_b32 v49, v50 offset:16
	v_xor_b32_e32 v10, vcc_hi, v9
	v_xor_b32_e32 v11, vcc_lo, v9
	v_and_b32_e32 v9, v8, v10
	v_and_b32_e32 v8, v52, v11
	v_mbcnt_lo_u32_b32 v10, v8, 0
	v_mbcnt_hi_u32_b32 v51, v9, v10
	v_cmp_eq_u32_e32 vcc, 0, v51
	v_cmp_ne_u64_e64 s[48:49], 0, v[8:9]
	s_and_b64 s[48:49], s[48:49], vcc
	; wave barrier
	s_and_saveexec_b64 s[10:11], s[48:49]
	s_cbranch_execz .LBB25_57
; %bb.56:
	v_bcnt_u32_b32 v8, v8, 0
	v_bcnt_u32_b32 v8, v9, v8
	s_waitcnt lgkmcnt(0)
	v_add_u32_e32 v8, v49, v8
	ds_write_b32 v50, v8 offset:16
.LBB25_57:
	s_or_b64 exec, exec, s[10:11]
	v_lshrrev_b32_e32 v8, s8, v18
	v_and_b32_e32 v54, s33, v8
	v_mul_lo_u32 v8, v54, 20
	v_lshl_add_u32 v53, v43, 2, v8
	v_and_b32_e32 v8, 1, v54
	v_mov_b32_e32 v9, 0
	v_lshl_add_u64 v[10:11], v[8:9], 0, -1
	v_cmp_ne_u32_e32 vcc, 0, v8
	; wave barrier
	s_nop 1
	v_xor_b32_e32 v10, vcc_lo, v10
	v_xor_b32_e32 v8, vcc_hi, v11
	v_and_b32_e32 v55, exec_lo, v10
	v_lshlrev_b32_e32 v11, 30, v54
	v_mov_b32_e32 v10, v9
	v_cmp_gt_i64_e32 vcc, 0, v[10:11]
	v_not_b32_e32 v10, v11
	v_ashrrev_i32_e32 v10, 31, v10
	v_and_b32_e32 v8, exec_hi, v8
	v_xor_b32_e32 v11, vcc_hi, v10
	v_xor_b32_e32 v10, vcc_lo, v10
	v_and_b32_e32 v8, v8, v11
	v_and_b32_e32 v55, v55, v10
	v_lshlrev_b32_e32 v11, 29, v54
	v_mov_b32_e32 v10, v9
	v_cmp_gt_i64_e32 vcc, 0, v[10:11]
	v_not_b32_e32 v10, v11
	v_ashrrev_i32_e32 v10, 31, v10
	v_xor_b32_e32 v11, vcc_hi, v10
	v_xor_b32_e32 v10, vcc_lo, v10
	v_and_b32_e32 v8, v8, v11
	v_and_b32_e32 v55, v55, v10
	v_lshlrev_b32_e32 v11, 28, v54
	v_mov_b32_e32 v10, v9
	v_cmp_gt_i64_e32 vcc, 0, v[10:11]
	v_not_b32_e32 v10, v11
	v_ashrrev_i32_e32 v10, 31, v10
	;; [unrolled: 9-line block ×6, first 2 shown]
	v_xor_b32_e32 v11, vcc_hi, v10
	v_xor_b32_e32 v10, vcc_lo, v10
	ds_read_b32 v52, v53 offset:16
	v_and_b32_e32 v10, v55, v10
	v_and_b32_e32 v11, v8, v11
	v_mbcnt_lo_u32_b32 v8, v10, 0
	v_mbcnt_hi_u32_b32 v54, v11, v8
	v_cmp_eq_u32_e32 vcc, 0, v54
	v_cmp_ne_u64_e64 s[48:49], 0, v[10:11]
	s_and_b64 s[48:49], s[48:49], vcc
	; wave barrier
	s_and_saveexec_b64 s[10:11], s[48:49]
	s_cbranch_execz .LBB25_59
; %bb.58:
	v_bcnt_u32_b32 v8, v10, 0
	v_bcnt_u32_b32 v8, v11, v8
	s_waitcnt lgkmcnt(0)
	v_add_u32_e32 v8, v52, v8
	ds_write_b32 v53, v8 offset:16
.LBB25_59:
	s_or_b64 exec, exec, s[10:11]
	v_lshrrev_b32_e32 v8, s8, v17
	v_and_b32_e32 v57, s33, v8
	v_mul_lo_u32 v8, v57, 20
	v_lshl_add_u32 v56, v43, 2, v8
	v_and_b32_e32 v8, 1, v57
	v_lshl_add_u64 v[10:11], v[8:9], 0, -1
	v_cmp_ne_u32_e32 vcc, 0, v8
	; wave barrier
	s_nop 1
	v_xor_b32_e32 v10, vcc_lo, v10
	v_xor_b32_e32 v8, vcc_hi, v11
	v_and_b32_e32 v58, exec_lo, v10
	v_lshlrev_b32_e32 v11, 30, v57
	v_mov_b32_e32 v10, v9
	v_cmp_gt_i64_e32 vcc, 0, v[10:11]
	v_not_b32_e32 v10, v11
	v_ashrrev_i32_e32 v10, 31, v10
	v_and_b32_e32 v8, exec_hi, v8
	v_xor_b32_e32 v11, vcc_hi, v10
	v_xor_b32_e32 v10, vcc_lo, v10
	v_and_b32_e32 v8, v8, v11
	v_and_b32_e32 v58, v58, v10
	v_lshlrev_b32_e32 v11, 29, v57
	v_mov_b32_e32 v10, v9
	v_cmp_gt_i64_e32 vcc, 0, v[10:11]
	v_not_b32_e32 v10, v11
	v_ashrrev_i32_e32 v10, 31, v10
	v_xor_b32_e32 v11, vcc_hi, v10
	v_xor_b32_e32 v10, vcc_lo, v10
	v_and_b32_e32 v8, v8, v11
	v_and_b32_e32 v58, v58, v10
	v_lshlrev_b32_e32 v11, 28, v57
	v_mov_b32_e32 v10, v9
	v_cmp_gt_i64_e32 vcc, 0, v[10:11]
	v_not_b32_e32 v10, v11
	v_ashrrev_i32_e32 v10, 31, v10
	;; [unrolled: 9-line block ×5, first 2 shown]
	v_xor_b32_e32 v11, vcc_hi, v10
	v_xor_b32_e32 v10, vcc_lo, v10
	v_and_b32_e32 v8, v8, v11
	v_lshlrev_b32_e32 v11, 24, v57
	v_and_b32_e32 v58, v58, v10
	v_mov_b32_e32 v10, v9
	v_not_b32_e32 v9, v11
	v_cmp_gt_i64_e32 vcc, 0, v[10:11]
	v_ashrrev_i32_e32 v9, 31, v9
	ds_read_b32 v55, v56 offset:16
	v_xor_b32_e32 v10, vcc_hi, v9
	v_xor_b32_e32 v11, vcc_lo, v9
	v_and_b32_e32 v9, v8, v10
	v_and_b32_e32 v8, v58, v11
	v_mbcnt_lo_u32_b32 v10, v8, 0
	v_mbcnt_hi_u32_b32 v57, v9, v10
	v_cmp_eq_u32_e32 vcc, 0, v57
	v_cmp_ne_u64_e64 s[48:49], 0, v[8:9]
	s_and_b64 s[48:49], s[48:49], vcc
	; wave barrier
	s_and_saveexec_b64 s[10:11], s[48:49]
	s_cbranch_execz .LBB25_61
; %bb.60:
	v_bcnt_u32_b32 v8, v8, 0
	v_bcnt_u32_b32 v8, v9, v8
	s_waitcnt lgkmcnt(0)
	v_add_u32_e32 v8, v55, v8
	ds_write_b32 v56, v8 offset:16
.LBB25_61:
	s_or_b64 exec, exec, s[10:11]
	v_lshrrev_b32_e32 v8, s8, v20
	v_and_b32_e32 v60, s33, v8
	v_mul_lo_u32 v8, v60, 20
	v_lshl_add_u32 v59, v43, 2, v8
	v_and_b32_e32 v8, 1, v60
	v_mov_b32_e32 v9, 0
	v_lshl_add_u64 v[10:11], v[8:9], 0, -1
	v_cmp_ne_u32_e32 vcc, 0, v8
	; wave barrier
	s_nop 1
	v_xor_b32_e32 v10, vcc_lo, v10
	v_xor_b32_e32 v8, vcc_hi, v11
	v_and_b32_e32 v61, exec_lo, v10
	v_lshlrev_b32_e32 v11, 30, v60
	v_mov_b32_e32 v10, v9
	v_cmp_gt_i64_e32 vcc, 0, v[10:11]
	v_not_b32_e32 v10, v11
	v_ashrrev_i32_e32 v10, 31, v10
	v_and_b32_e32 v8, exec_hi, v8
	v_xor_b32_e32 v11, vcc_hi, v10
	v_xor_b32_e32 v10, vcc_lo, v10
	v_and_b32_e32 v8, v8, v11
	v_and_b32_e32 v61, v61, v10
	v_lshlrev_b32_e32 v11, 29, v60
	v_mov_b32_e32 v10, v9
	v_cmp_gt_i64_e32 vcc, 0, v[10:11]
	v_not_b32_e32 v10, v11
	v_ashrrev_i32_e32 v10, 31, v10
	v_xor_b32_e32 v11, vcc_hi, v10
	v_xor_b32_e32 v10, vcc_lo, v10
	v_and_b32_e32 v8, v8, v11
	v_and_b32_e32 v61, v61, v10
	v_lshlrev_b32_e32 v11, 28, v60
	v_mov_b32_e32 v10, v9
	v_cmp_gt_i64_e32 vcc, 0, v[10:11]
	v_not_b32_e32 v10, v11
	v_ashrrev_i32_e32 v10, 31, v10
	;; [unrolled: 9-line block ×6, first 2 shown]
	v_xor_b32_e32 v11, vcc_hi, v10
	v_xor_b32_e32 v10, vcc_lo, v10
	ds_read_b32 v58, v59 offset:16
	v_and_b32_e32 v10, v61, v10
	v_and_b32_e32 v11, v8, v11
	v_mbcnt_lo_u32_b32 v8, v10, 0
	v_mbcnt_hi_u32_b32 v60, v11, v8
	v_cmp_eq_u32_e32 vcc, 0, v60
	v_cmp_ne_u64_e64 s[48:49], 0, v[10:11]
	s_and_b64 s[48:49], s[48:49], vcc
	; wave barrier
	s_and_saveexec_b64 s[10:11], s[48:49]
	s_cbranch_execz .LBB25_63
; %bb.62:
	v_bcnt_u32_b32 v8, v10, 0
	v_bcnt_u32_b32 v8, v11, v8
	s_waitcnt lgkmcnt(0)
	v_add_u32_e32 v8, v58, v8
	ds_write_b32 v59, v8 offset:16
.LBB25_63:
	s_or_b64 exec, exec, s[10:11]
	v_lshrrev_b32_e32 v8, s8, v19
	v_and_b32_e32 v63, s33, v8
	v_mul_lo_u32 v8, v63, 20
	v_lshl_add_u32 v62, v43, 2, v8
	v_and_b32_e32 v8, 1, v63
	v_lshl_add_u64 v[10:11], v[8:9], 0, -1
	v_cmp_ne_u32_e32 vcc, 0, v8
	; wave barrier
	s_nop 1
	v_xor_b32_e32 v10, vcc_lo, v10
	v_xor_b32_e32 v8, vcc_hi, v11
	v_and_b32_e32 v64, exec_lo, v10
	v_lshlrev_b32_e32 v11, 30, v63
	v_mov_b32_e32 v10, v9
	v_cmp_gt_i64_e32 vcc, 0, v[10:11]
	v_not_b32_e32 v10, v11
	v_ashrrev_i32_e32 v10, 31, v10
	v_and_b32_e32 v8, exec_hi, v8
	v_xor_b32_e32 v11, vcc_hi, v10
	v_xor_b32_e32 v10, vcc_lo, v10
	v_and_b32_e32 v8, v8, v11
	v_and_b32_e32 v64, v64, v10
	v_lshlrev_b32_e32 v11, 29, v63
	v_mov_b32_e32 v10, v9
	v_cmp_gt_i64_e32 vcc, 0, v[10:11]
	v_not_b32_e32 v10, v11
	v_ashrrev_i32_e32 v10, 31, v10
	v_xor_b32_e32 v11, vcc_hi, v10
	v_xor_b32_e32 v10, vcc_lo, v10
	v_and_b32_e32 v8, v8, v11
	v_and_b32_e32 v64, v64, v10
	v_lshlrev_b32_e32 v11, 28, v63
	v_mov_b32_e32 v10, v9
	v_cmp_gt_i64_e32 vcc, 0, v[10:11]
	v_not_b32_e32 v10, v11
	v_ashrrev_i32_e32 v10, 31, v10
	v_xor_b32_e32 v11, vcc_hi, v10
	v_xor_b32_e32 v10, vcc_lo, v10
	v_and_b32_e32 v8, v8, v11
	v_and_b32_e32 v64, v64, v10
	v_lshlrev_b32_e32 v11, 27, v63
	v_mov_b32_e32 v10, v9
	v_cmp_gt_i64_e32 vcc, 0, v[10:11]
	v_not_b32_e32 v10, v11
	v_ashrrev_i32_e32 v10, 31, v10
	v_xor_b32_e32 v11, vcc_hi, v10
	v_xor_b32_e32 v10, vcc_lo, v10
	v_and_b32_e32 v8, v8, v11
	v_and_b32_e32 v64, v64, v10
	v_lshlrev_b32_e32 v11, 26, v63
	v_mov_b32_e32 v10, v9
	v_cmp_gt_i64_e32 vcc, 0, v[10:11]
	v_not_b32_e32 v10, v11
	v_ashrrev_i32_e32 v10, 31, v10
	v_xor_b32_e32 v11, vcc_hi, v10
	v_xor_b32_e32 v10, vcc_lo, v10
	v_and_b32_e32 v8, v8, v11
	v_and_b32_e32 v64, v64, v10
	v_lshlrev_b32_e32 v11, 25, v63
	v_mov_b32_e32 v10, v9
	v_cmp_gt_i64_e32 vcc, 0, v[10:11]
	v_not_b32_e32 v10, v11
	v_ashrrev_i32_e32 v10, 31, v10
	v_xor_b32_e32 v11, vcc_hi, v10
	v_xor_b32_e32 v10, vcc_lo, v10
	v_and_b32_e32 v8, v8, v11
	v_lshlrev_b32_e32 v11, 24, v63
	v_and_b32_e32 v64, v64, v10
	v_mov_b32_e32 v10, v9
	v_not_b32_e32 v9, v11
	v_cmp_gt_i64_e32 vcc, 0, v[10:11]
	v_ashrrev_i32_e32 v9, 31, v9
	ds_read_b32 v61, v62 offset:16
	v_xor_b32_e32 v10, vcc_hi, v9
	v_xor_b32_e32 v11, vcc_lo, v9
	v_and_b32_e32 v9, v8, v10
	v_and_b32_e32 v8, v64, v11
	v_mbcnt_lo_u32_b32 v10, v8, 0
	v_mbcnt_hi_u32_b32 v63, v9, v10
	v_cmp_eq_u32_e32 vcc, 0, v63
	v_cmp_ne_u64_e64 s[48:49], 0, v[8:9]
	s_and_b64 s[48:49], s[48:49], vcc
	; wave barrier
	s_and_saveexec_b64 s[10:11], s[48:49]
	s_cbranch_execz .LBB25_65
; %bb.64:
	v_bcnt_u32_b32 v8, v8, 0
	v_bcnt_u32_b32 v8, v9, v8
	s_waitcnt lgkmcnt(0)
	v_add_u32_e32 v8, v61, v8
	ds_write_b32 v62, v8 offset:16
.LBB25_65:
	s_or_b64 exec, exec, s[10:11]
	v_lshrrev_b32_e32 v8, s8, v22
	v_and_b32_e32 v66, s33, v8
	v_mul_lo_u32 v8, v66, 20
	v_lshl_add_u32 v65, v43, 2, v8
	v_and_b32_e32 v8, 1, v66
	v_mov_b32_e32 v9, 0
	v_lshl_add_u64 v[10:11], v[8:9], 0, -1
	v_cmp_ne_u32_e32 vcc, 0, v8
	; wave barrier
	s_nop 1
	v_xor_b32_e32 v10, vcc_lo, v10
	v_xor_b32_e32 v8, vcc_hi, v11
	v_and_b32_e32 v67, exec_lo, v10
	v_lshlrev_b32_e32 v11, 30, v66
	v_mov_b32_e32 v10, v9
	v_cmp_gt_i64_e32 vcc, 0, v[10:11]
	v_not_b32_e32 v10, v11
	v_ashrrev_i32_e32 v10, 31, v10
	v_and_b32_e32 v8, exec_hi, v8
	v_xor_b32_e32 v11, vcc_hi, v10
	v_xor_b32_e32 v10, vcc_lo, v10
	v_and_b32_e32 v8, v8, v11
	v_and_b32_e32 v67, v67, v10
	v_lshlrev_b32_e32 v11, 29, v66
	v_mov_b32_e32 v10, v9
	v_cmp_gt_i64_e32 vcc, 0, v[10:11]
	v_not_b32_e32 v10, v11
	v_ashrrev_i32_e32 v10, 31, v10
	v_xor_b32_e32 v11, vcc_hi, v10
	v_xor_b32_e32 v10, vcc_lo, v10
	v_and_b32_e32 v8, v8, v11
	v_and_b32_e32 v67, v67, v10
	v_lshlrev_b32_e32 v11, 28, v66
	v_mov_b32_e32 v10, v9
	v_cmp_gt_i64_e32 vcc, 0, v[10:11]
	v_not_b32_e32 v10, v11
	v_ashrrev_i32_e32 v10, 31, v10
	;; [unrolled: 9-line block ×6, first 2 shown]
	v_xor_b32_e32 v11, vcc_hi, v10
	v_xor_b32_e32 v10, vcc_lo, v10
	ds_read_b32 v64, v65 offset:16
	v_and_b32_e32 v10, v67, v10
	v_and_b32_e32 v11, v8, v11
	v_mbcnt_lo_u32_b32 v8, v10, 0
	v_mbcnt_hi_u32_b32 v66, v11, v8
	v_cmp_eq_u32_e32 vcc, 0, v66
	v_cmp_ne_u64_e64 s[48:49], 0, v[10:11]
	s_and_b64 s[48:49], s[48:49], vcc
	; wave barrier
	s_and_saveexec_b64 s[10:11], s[48:49]
	s_cbranch_execz .LBB25_67
; %bb.66:
	v_bcnt_u32_b32 v8, v10, 0
	v_bcnt_u32_b32 v8, v11, v8
	s_waitcnt lgkmcnt(0)
	v_add_u32_e32 v8, v64, v8
	ds_write_b32 v65, v8 offset:16
.LBB25_67:
	s_or_b64 exec, exec, s[10:11]
	v_lshrrev_b32_e32 v8, s8, v21
	v_and_b32_e32 v69, s33, v8
	v_mul_lo_u32 v8, v69, 20
	v_lshl_add_u32 v68, v43, 2, v8
	v_and_b32_e32 v8, 1, v69
	v_lshl_add_u64 v[10:11], v[8:9], 0, -1
	v_cmp_ne_u32_e32 vcc, 0, v8
	; wave barrier
	s_nop 1
	v_xor_b32_e32 v10, vcc_lo, v10
	v_xor_b32_e32 v8, vcc_hi, v11
	v_and_b32_e32 v70, exec_lo, v10
	v_lshlrev_b32_e32 v11, 30, v69
	v_mov_b32_e32 v10, v9
	v_cmp_gt_i64_e32 vcc, 0, v[10:11]
	v_not_b32_e32 v10, v11
	v_ashrrev_i32_e32 v10, 31, v10
	v_and_b32_e32 v8, exec_hi, v8
	v_xor_b32_e32 v11, vcc_hi, v10
	v_xor_b32_e32 v10, vcc_lo, v10
	v_and_b32_e32 v8, v8, v11
	v_and_b32_e32 v70, v70, v10
	v_lshlrev_b32_e32 v11, 29, v69
	v_mov_b32_e32 v10, v9
	v_cmp_gt_i64_e32 vcc, 0, v[10:11]
	v_not_b32_e32 v10, v11
	v_ashrrev_i32_e32 v10, 31, v10
	v_xor_b32_e32 v11, vcc_hi, v10
	v_xor_b32_e32 v10, vcc_lo, v10
	v_and_b32_e32 v8, v8, v11
	v_and_b32_e32 v70, v70, v10
	v_lshlrev_b32_e32 v11, 28, v69
	v_mov_b32_e32 v10, v9
	v_cmp_gt_i64_e32 vcc, 0, v[10:11]
	v_not_b32_e32 v10, v11
	v_ashrrev_i32_e32 v10, 31, v10
	;; [unrolled: 9-line block ×5, first 2 shown]
	v_xor_b32_e32 v11, vcc_hi, v10
	v_xor_b32_e32 v10, vcc_lo, v10
	v_and_b32_e32 v8, v8, v11
	v_lshlrev_b32_e32 v11, 24, v69
	v_and_b32_e32 v70, v70, v10
	v_mov_b32_e32 v10, v9
	v_not_b32_e32 v9, v11
	v_cmp_gt_i64_e32 vcc, 0, v[10:11]
	v_ashrrev_i32_e32 v9, 31, v9
	ds_read_b32 v67, v68 offset:16
	v_xor_b32_e32 v10, vcc_hi, v9
	v_xor_b32_e32 v11, vcc_lo, v9
	v_and_b32_e32 v9, v8, v10
	v_and_b32_e32 v8, v70, v11
	v_mbcnt_lo_u32_b32 v10, v8, 0
	v_mbcnt_hi_u32_b32 v69, v9, v10
	v_cmp_eq_u32_e32 vcc, 0, v69
	v_cmp_ne_u64_e64 s[48:49], 0, v[8:9]
	s_and_b64 s[48:49], s[48:49], vcc
	; wave barrier
	s_and_saveexec_b64 s[10:11], s[48:49]
	s_cbranch_execz .LBB25_69
; %bb.68:
	v_bcnt_u32_b32 v8, v8, 0
	v_bcnt_u32_b32 v8, v9, v8
	s_waitcnt lgkmcnt(0)
	v_add_u32_e32 v8, v67, v8
	ds_write_b32 v68, v8 offset:16
.LBB25_69:
	s_or_b64 exec, exec, s[10:11]
	v_lshrrev_b32_e32 v8, s8, v24
	v_and_b32_e32 v72, s33, v8
	v_mul_lo_u32 v8, v72, 20
	v_lshl_add_u32 v71, v43, 2, v8
	v_and_b32_e32 v8, 1, v72
	v_mov_b32_e32 v9, 0
	v_lshl_add_u64 v[10:11], v[8:9], 0, -1
	v_cmp_ne_u32_e32 vcc, 0, v8
	; wave barrier
	s_nop 1
	v_xor_b32_e32 v10, vcc_lo, v10
	v_xor_b32_e32 v8, vcc_hi, v11
	v_and_b32_e32 v73, exec_lo, v10
	v_lshlrev_b32_e32 v11, 30, v72
	v_mov_b32_e32 v10, v9
	v_cmp_gt_i64_e32 vcc, 0, v[10:11]
	v_not_b32_e32 v10, v11
	v_ashrrev_i32_e32 v10, 31, v10
	v_and_b32_e32 v8, exec_hi, v8
	v_xor_b32_e32 v11, vcc_hi, v10
	v_xor_b32_e32 v10, vcc_lo, v10
	v_and_b32_e32 v8, v8, v11
	v_and_b32_e32 v73, v73, v10
	v_lshlrev_b32_e32 v11, 29, v72
	v_mov_b32_e32 v10, v9
	v_cmp_gt_i64_e32 vcc, 0, v[10:11]
	v_not_b32_e32 v10, v11
	v_ashrrev_i32_e32 v10, 31, v10
	v_xor_b32_e32 v11, vcc_hi, v10
	v_xor_b32_e32 v10, vcc_lo, v10
	v_and_b32_e32 v8, v8, v11
	v_and_b32_e32 v73, v73, v10
	v_lshlrev_b32_e32 v11, 28, v72
	v_mov_b32_e32 v10, v9
	v_cmp_gt_i64_e32 vcc, 0, v[10:11]
	v_not_b32_e32 v10, v11
	v_ashrrev_i32_e32 v10, 31, v10
	;; [unrolled: 9-line block ×6, first 2 shown]
	v_xor_b32_e32 v11, vcc_hi, v10
	v_xor_b32_e32 v10, vcc_lo, v10
	ds_read_b32 v70, v71 offset:16
	v_and_b32_e32 v10, v73, v10
	v_and_b32_e32 v11, v8, v11
	v_mbcnt_lo_u32_b32 v8, v10, 0
	v_mbcnt_hi_u32_b32 v72, v11, v8
	v_cmp_eq_u32_e32 vcc, 0, v72
	v_cmp_ne_u64_e64 s[48:49], 0, v[10:11]
	s_and_b64 s[48:49], s[48:49], vcc
	; wave barrier
	s_and_saveexec_b64 s[10:11], s[48:49]
	s_cbranch_execz .LBB25_71
; %bb.70:
	v_bcnt_u32_b32 v8, v10, 0
	v_bcnt_u32_b32 v8, v11, v8
	s_waitcnt lgkmcnt(0)
	v_add_u32_e32 v8, v70, v8
	ds_write_b32 v71, v8 offset:16
.LBB25_71:
	s_or_b64 exec, exec, s[10:11]
	v_lshrrev_b32_e32 v8, s8, v23
	v_and_b32_e32 v75, s33, v8
	v_mul_lo_u32 v8, v75, 20
	v_lshl_add_u32 v74, v43, 2, v8
	v_and_b32_e32 v8, 1, v75
	v_lshl_add_u64 v[10:11], v[8:9], 0, -1
	v_cmp_ne_u32_e32 vcc, 0, v8
	; wave barrier
	s_nop 1
	v_xor_b32_e32 v10, vcc_lo, v10
	v_xor_b32_e32 v8, vcc_hi, v11
	v_and_b32_e32 v76, exec_lo, v10
	v_lshlrev_b32_e32 v11, 30, v75
	v_mov_b32_e32 v10, v9
	v_cmp_gt_i64_e32 vcc, 0, v[10:11]
	v_not_b32_e32 v10, v11
	v_ashrrev_i32_e32 v10, 31, v10
	v_and_b32_e32 v8, exec_hi, v8
	v_xor_b32_e32 v11, vcc_hi, v10
	v_xor_b32_e32 v10, vcc_lo, v10
	v_and_b32_e32 v8, v8, v11
	v_and_b32_e32 v76, v76, v10
	v_lshlrev_b32_e32 v11, 29, v75
	v_mov_b32_e32 v10, v9
	v_cmp_gt_i64_e32 vcc, 0, v[10:11]
	v_not_b32_e32 v10, v11
	v_ashrrev_i32_e32 v10, 31, v10
	v_xor_b32_e32 v11, vcc_hi, v10
	v_xor_b32_e32 v10, vcc_lo, v10
	v_and_b32_e32 v8, v8, v11
	v_and_b32_e32 v76, v76, v10
	v_lshlrev_b32_e32 v11, 28, v75
	v_mov_b32_e32 v10, v9
	v_cmp_gt_i64_e32 vcc, 0, v[10:11]
	v_not_b32_e32 v10, v11
	v_ashrrev_i32_e32 v10, 31, v10
	v_xor_b32_e32 v11, vcc_hi, v10
	v_xor_b32_e32 v10, vcc_lo, v10
	v_and_b32_e32 v8, v8, v11
	v_and_b32_e32 v76, v76, v10
	v_lshlrev_b32_e32 v11, 27, v75
	v_mov_b32_e32 v10, v9
	v_cmp_gt_i64_e32 vcc, 0, v[10:11]
	v_not_b32_e32 v10, v11
	v_ashrrev_i32_e32 v10, 31, v10
	v_xor_b32_e32 v11, vcc_hi, v10
	v_xor_b32_e32 v10, vcc_lo, v10
	v_and_b32_e32 v8, v8, v11
	v_and_b32_e32 v76, v76, v10
	v_lshlrev_b32_e32 v11, 26, v75
	v_mov_b32_e32 v10, v9
	v_cmp_gt_i64_e32 vcc, 0, v[10:11]
	v_not_b32_e32 v10, v11
	v_ashrrev_i32_e32 v10, 31, v10
	v_xor_b32_e32 v11, vcc_hi, v10
	v_xor_b32_e32 v10, vcc_lo, v10
	v_and_b32_e32 v8, v8, v11
	v_and_b32_e32 v76, v76, v10
	v_lshlrev_b32_e32 v11, 25, v75
	v_mov_b32_e32 v10, v9
	v_cmp_gt_i64_e32 vcc, 0, v[10:11]
	v_not_b32_e32 v10, v11
	v_ashrrev_i32_e32 v10, 31, v10
	v_xor_b32_e32 v11, vcc_hi, v10
	v_xor_b32_e32 v10, vcc_lo, v10
	v_and_b32_e32 v8, v8, v11
	v_lshlrev_b32_e32 v11, 24, v75
	v_and_b32_e32 v76, v76, v10
	v_mov_b32_e32 v10, v9
	v_not_b32_e32 v9, v11
	v_cmp_gt_i64_e32 vcc, 0, v[10:11]
	v_ashrrev_i32_e32 v9, 31, v9
	ds_read_b32 v73, v74 offset:16
	v_xor_b32_e32 v10, vcc_hi, v9
	v_xor_b32_e32 v11, vcc_lo, v9
	v_and_b32_e32 v9, v8, v10
	v_and_b32_e32 v8, v76, v11
	v_mbcnt_lo_u32_b32 v10, v8, 0
	v_mbcnt_hi_u32_b32 v75, v9, v10
	v_cmp_eq_u32_e32 vcc, 0, v75
	v_cmp_ne_u64_e64 s[48:49], 0, v[8:9]
	s_and_b64 s[48:49], s[48:49], vcc
	; wave barrier
	s_and_saveexec_b64 s[10:11], s[48:49]
	s_cbranch_execz .LBB25_73
; %bb.72:
	v_bcnt_u32_b32 v8, v8, 0
	v_bcnt_u32_b32 v8, v9, v8
	s_waitcnt lgkmcnt(0)
	v_add_u32_e32 v8, v73, v8
	ds_write_b32 v74, v8 offset:16
.LBB25_73:
	s_or_b64 exec, exec, s[10:11]
	v_lshrrev_b32_e32 v8, s8, v26
	v_and_b32_e32 v78, s33, v8
	v_mul_lo_u32 v8, v78, 20
	v_lshl_add_u32 v77, v43, 2, v8
	v_and_b32_e32 v8, 1, v78
	v_mov_b32_e32 v9, 0
	v_lshl_add_u64 v[10:11], v[8:9], 0, -1
	v_cmp_ne_u32_e32 vcc, 0, v8
	; wave barrier
	s_nop 1
	v_xor_b32_e32 v10, vcc_lo, v10
	v_xor_b32_e32 v8, vcc_hi, v11
	v_and_b32_e32 v79, exec_lo, v10
	v_lshlrev_b32_e32 v11, 30, v78
	v_mov_b32_e32 v10, v9
	v_cmp_gt_i64_e32 vcc, 0, v[10:11]
	v_not_b32_e32 v10, v11
	v_ashrrev_i32_e32 v10, 31, v10
	v_and_b32_e32 v8, exec_hi, v8
	v_xor_b32_e32 v11, vcc_hi, v10
	v_xor_b32_e32 v10, vcc_lo, v10
	v_and_b32_e32 v8, v8, v11
	v_and_b32_e32 v79, v79, v10
	v_lshlrev_b32_e32 v11, 29, v78
	v_mov_b32_e32 v10, v9
	v_cmp_gt_i64_e32 vcc, 0, v[10:11]
	v_not_b32_e32 v10, v11
	v_ashrrev_i32_e32 v10, 31, v10
	v_xor_b32_e32 v11, vcc_hi, v10
	v_xor_b32_e32 v10, vcc_lo, v10
	v_and_b32_e32 v8, v8, v11
	v_and_b32_e32 v79, v79, v10
	v_lshlrev_b32_e32 v11, 28, v78
	v_mov_b32_e32 v10, v9
	v_cmp_gt_i64_e32 vcc, 0, v[10:11]
	v_not_b32_e32 v10, v11
	v_ashrrev_i32_e32 v10, 31, v10
	;; [unrolled: 9-line block ×6, first 2 shown]
	v_xor_b32_e32 v11, vcc_hi, v10
	v_xor_b32_e32 v10, vcc_lo, v10
	ds_read_b32 v76, v77 offset:16
	v_and_b32_e32 v10, v79, v10
	v_and_b32_e32 v11, v8, v11
	v_mbcnt_lo_u32_b32 v8, v10, 0
	v_mbcnt_hi_u32_b32 v78, v11, v8
	v_cmp_eq_u32_e32 vcc, 0, v78
	v_cmp_ne_u64_e64 s[48:49], 0, v[10:11]
	s_and_b64 s[48:49], s[48:49], vcc
	; wave barrier
	s_and_saveexec_b64 s[10:11], s[48:49]
	s_cbranch_execz .LBB25_75
; %bb.74:
	v_bcnt_u32_b32 v8, v10, 0
	v_bcnt_u32_b32 v8, v11, v8
	s_waitcnt lgkmcnt(0)
	v_add_u32_e32 v8, v76, v8
	ds_write_b32 v77, v8 offset:16
.LBB25_75:
	s_or_b64 exec, exec, s[10:11]
	v_lshrrev_b32_e32 v8, s8, v25
	v_and_b32_e32 v81, s33, v8
	v_mul_lo_u32 v8, v81, 20
	v_lshl_add_u32 v80, v43, 2, v8
	v_and_b32_e32 v8, 1, v81
	v_lshl_add_u64 v[10:11], v[8:9], 0, -1
	v_cmp_ne_u32_e32 vcc, 0, v8
	; wave barrier
	s_nop 1
	v_xor_b32_e32 v10, vcc_lo, v10
	v_xor_b32_e32 v8, vcc_hi, v11
	v_and_b32_e32 v82, exec_lo, v10
	v_lshlrev_b32_e32 v11, 30, v81
	v_mov_b32_e32 v10, v9
	v_cmp_gt_i64_e32 vcc, 0, v[10:11]
	v_not_b32_e32 v10, v11
	v_ashrrev_i32_e32 v10, 31, v10
	v_and_b32_e32 v8, exec_hi, v8
	v_xor_b32_e32 v11, vcc_hi, v10
	v_xor_b32_e32 v10, vcc_lo, v10
	v_and_b32_e32 v8, v8, v11
	v_and_b32_e32 v82, v82, v10
	v_lshlrev_b32_e32 v11, 29, v81
	v_mov_b32_e32 v10, v9
	v_cmp_gt_i64_e32 vcc, 0, v[10:11]
	v_not_b32_e32 v10, v11
	v_ashrrev_i32_e32 v10, 31, v10
	v_xor_b32_e32 v11, vcc_hi, v10
	v_xor_b32_e32 v10, vcc_lo, v10
	v_and_b32_e32 v8, v8, v11
	v_and_b32_e32 v82, v82, v10
	v_lshlrev_b32_e32 v11, 28, v81
	v_mov_b32_e32 v10, v9
	v_cmp_gt_i64_e32 vcc, 0, v[10:11]
	v_not_b32_e32 v10, v11
	v_ashrrev_i32_e32 v10, 31, v10
	;; [unrolled: 9-line block ×5, first 2 shown]
	v_xor_b32_e32 v11, vcc_hi, v10
	v_xor_b32_e32 v10, vcc_lo, v10
	v_and_b32_e32 v8, v8, v11
	v_lshlrev_b32_e32 v11, 24, v81
	v_and_b32_e32 v82, v82, v10
	v_mov_b32_e32 v10, v9
	v_not_b32_e32 v9, v11
	v_cmp_gt_i64_e32 vcc, 0, v[10:11]
	v_ashrrev_i32_e32 v9, 31, v9
	ds_read_b32 v79, v80 offset:16
	v_xor_b32_e32 v10, vcc_hi, v9
	v_xor_b32_e32 v11, vcc_lo, v9
	v_and_b32_e32 v9, v8, v10
	v_and_b32_e32 v8, v82, v11
	v_mbcnt_lo_u32_b32 v10, v8, 0
	v_mbcnt_hi_u32_b32 v81, v9, v10
	v_cmp_eq_u32_e32 vcc, 0, v81
	v_cmp_ne_u64_e64 s[48:49], 0, v[8:9]
	s_and_b64 s[48:49], s[48:49], vcc
	; wave barrier
	s_and_saveexec_b64 s[10:11], s[48:49]
	s_cbranch_execz .LBB25_77
; %bb.76:
	v_bcnt_u32_b32 v8, v8, 0
	v_bcnt_u32_b32 v8, v9, v8
	s_waitcnt lgkmcnt(0)
	v_add_u32_e32 v8, v79, v8
	ds_write_b32 v80, v8 offset:16
.LBB25_77:
	s_or_b64 exec, exec, s[10:11]
	v_lshrrev_b32_e32 v8, s8, v28
	v_and_b32_e32 v84, s33, v8
	v_mul_lo_u32 v8, v84, 20
	v_lshl_add_u32 v83, v43, 2, v8
	v_and_b32_e32 v8, 1, v84
	v_mov_b32_e32 v9, 0
	v_lshl_add_u64 v[10:11], v[8:9], 0, -1
	v_cmp_ne_u32_e32 vcc, 0, v8
	; wave barrier
	s_nop 1
	v_xor_b32_e32 v10, vcc_lo, v10
	v_xor_b32_e32 v8, vcc_hi, v11
	v_and_b32_e32 v85, exec_lo, v10
	v_lshlrev_b32_e32 v11, 30, v84
	v_mov_b32_e32 v10, v9
	v_cmp_gt_i64_e32 vcc, 0, v[10:11]
	v_not_b32_e32 v10, v11
	v_ashrrev_i32_e32 v10, 31, v10
	v_and_b32_e32 v8, exec_hi, v8
	v_xor_b32_e32 v11, vcc_hi, v10
	v_xor_b32_e32 v10, vcc_lo, v10
	v_and_b32_e32 v8, v8, v11
	v_and_b32_e32 v85, v85, v10
	v_lshlrev_b32_e32 v11, 29, v84
	v_mov_b32_e32 v10, v9
	v_cmp_gt_i64_e32 vcc, 0, v[10:11]
	v_not_b32_e32 v10, v11
	v_ashrrev_i32_e32 v10, 31, v10
	v_xor_b32_e32 v11, vcc_hi, v10
	v_xor_b32_e32 v10, vcc_lo, v10
	v_and_b32_e32 v8, v8, v11
	v_and_b32_e32 v85, v85, v10
	v_lshlrev_b32_e32 v11, 28, v84
	v_mov_b32_e32 v10, v9
	v_cmp_gt_i64_e32 vcc, 0, v[10:11]
	v_not_b32_e32 v10, v11
	v_ashrrev_i32_e32 v10, 31, v10
	;; [unrolled: 9-line block ×6, first 2 shown]
	v_xor_b32_e32 v11, vcc_hi, v10
	v_xor_b32_e32 v10, vcc_lo, v10
	ds_read_b32 v82, v83 offset:16
	v_and_b32_e32 v10, v85, v10
	v_and_b32_e32 v11, v8, v11
	v_mbcnt_lo_u32_b32 v8, v10, 0
	v_mbcnt_hi_u32_b32 v84, v11, v8
	v_cmp_eq_u32_e32 vcc, 0, v84
	v_cmp_ne_u64_e64 s[48:49], 0, v[10:11]
	s_and_b64 s[48:49], s[48:49], vcc
	; wave barrier
	s_and_saveexec_b64 s[10:11], s[48:49]
	s_cbranch_execz .LBB25_79
; %bb.78:
	v_bcnt_u32_b32 v8, v10, 0
	v_bcnt_u32_b32 v8, v11, v8
	s_waitcnt lgkmcnt(0)
	v_add_u32_e32 v8, v82, v8
	ds_write_b32 v83, v8 offset:16
.LBB25_79:
	s_or_b64 exec, exec, s[10:11]
	v_lshrrev_b32_e32 v8, s8, v27
	v_and_b32_e32 v87, s33, v8
	v_mul_lo_u32 v8, v87, 20
	v_lshl_add_u32 v86, v43, 2, v8
	v_and_b32_e32 v8, 1, v87
	v_lshl_add_u64 v[10:11], v[8:9], 0, -1
	v_cmp_ne_u32_e32 vcc, 0, v8
	; wave barrier
	s_nop 1
	v_xor_b32_e32 v10, vcc_lo, v10
	v_xor_b32_e32 v8, vcc_hi, v11
	v_and_b32_e32 v88, exec_lo, v10
	v_lshlrev_b32_e32 v11, 30, v87
	v_mov_b32_e32 v10, v9
	v_cmp_gt_i64_e32 vcc, 0, v[10:11]
	v_not_b32_e32 v10, v11
	v_ashrrev_i32_e32 v10, 31, v10
	v_and_b32_e32 v8, exec_hi, v8
	v_xor_b32_e32 v11, vcc_hi, v10
	v_xor_b32_e32 v10, vcc_lo, v10
	v_and_b32_e32 v8, v8, v11
	v_and_b32_e32 v88, v88, v10
	v_lshlrev_b32_e32 v11, 29, v87
	v_mov_b32_e32 v10, v9
	v_cmp_gt_i64_e32 vcc, 0, v[10:11]
	v_not_b32_e32 v10, v11
	v_ashrrev_i32_e32 v10, 31, v10
	v_xor_b32_e32 v11, vcc_hi, v10
	v_xor_b32_e32 v10, vcc_lo, v10
	v_and_b32_e32 v8, v8, v11
	v_and_b32_e32 v88, v88, v10
	v_lshlrev_b32_e32 v11, 28, v87
	v_mov_b32_e32 v10, v9
	v_cmp_gt_i64_e32 vcc, 0, v[10:11]
	v_not_b32_e32 v10, v11
	v_ashrrev_i32_e32 v10, 31, v10
	;; [unrolled: 9-line block ×5, first 2 shown]
	v_xor_b32_e32 v11, vcc_hi, v10
	v_xor_b32_e32 v10, vcc_lo, v10
	v_and_b32_e32 v8, v8, v11
	v_lshlrev_b32_e32 v11, 24, v87
	v_and_b32_e32 v88, v88, v10
	v_mov_b32_e32 v10, v9
	v_not_b32_e32 v9, v11
	v_cmp_gt_i64_e32 vcc, 0, v[10:11]
	v_ashrrev_i32_e32 v9, 31, v9
	ds_read_b32 v85, v86 offset:16
	v_xor_b32_e32 v10, vcc_hi, v9
	v_xor_b32_e32 v11, vcc_lo, v9
	v_and_b32_e32 v9, v8, v10
	v_and_b32_e32 v8, v88, v11
	v_mbcnt_lo_u32_b32 v10, v8, 0
	v_mbcnt_hi_u32_b32 v87, v9, v10
	v_cmp_eq_u32_e32 vcc, 0, v87
	v_cmp_ne_u64_e64 s[48:49], 0, v[8:9]
	s_and_b64 s[48:49], s[48:49], vcc
	; wave barrier
	s_and_saveexec_b64 s[10:11], s[48:49]
	s_cbranch_execz .LBB25_81
; %bb.80:
	v_bcnt_u32_b32 v8, v8, 0
	v_bcnt_u32_b32 v8, v9, v8
	s_waitcnt lgkmcnt(0)
	v_add_u32_e32 v8, v85, v8
	ds_write_b32 v86, v8 offset:16
.LBB25_81:
	s_or_b64 exec, exec, s[10:11]
	v_lshrrev_b32_e32 v8, s8, v30
	v_and_b32_e32 v90, s33, v8
	v_mul_lo_u32 v8, v90, 20
	v_lshl_add_u32 v89, v43, 2, v8
	v_and_b32_e32 v8, 1, v90
	v_mov_b32_e32 v9, 0
	v_lshl_add_u64 v[10:11], v[8:9], 0, -1
	v_cmp_ne_u32_e32 vcc, 0, v8
	; wave barrier
	s_nop 1
	v_xor_b32_e32 v10, vcc_lo, v10
	v_xor_b32_e32 v8, vcc_hi, v11
	v_and_b32_e32 v91, exec_lo, v10
	v_lshlrev_b32_e32 v11, 30, v90
	v_mov_b32_e32 v10, v9
	v_cmp_gt_i64_e32 vcc, 0, v[10:11]
	v_not_b32_e32 v10, v11
	v_ashrrev_i32_e32 v10, 31, v10
	v_and_b32_e32 v8, exec_hi, v8
	v_xor_b32_e32 v11, vcc_hi, v10
	v_xor_b32_e32 v10, vcc_lo, v10
	v_and_b32_e32 v8, v8, v11
	v_and_b32_e32 v91, v91, v10
	v_lshlrev_b32_e32 v11, 29, v90
	v_mov_b32_e32 v10, v9
	v_cmp_gt_i64_e32 vcc, 0, v[10:11]
	v_not_b32_e32 v10, v11
	v_ashrrev_i32_e32 v10, 31, v10
	v_xor_b32_e32 v11, vcc_hi, v10
	v_xor_b32_e32 v10, vcc_lo, v10
	v_and_b32_e32 v8, v8, v11
	v_and_b32_e32 v91, v91, v10
	v_lshlrev_b32_e32 v11, 28, v90
	v_mov_b32_e32 v10, v9
	v_cmp_gt_i64_e32 vcc, 0, v[10:11]
	v_not_b32_e32 v10, v11
	v_ashrrev_i32_e32 v10, 31, v10
	;; [unrolled: 9-line block ×6, first 2 shown]
	v_xor_b32_e32 v11, vcc_hi, v10
	v_xor_b32_e32 v10, vcc_lo, v10
	ds_read_b32 v88, v89 offset:16
	v_and_b32_e32 v10, v91, v10
	v_and_b32_e32 v11, v8, v11
	v_mbcnt_lo_u32_b32 v8, v10, 0
	v_mbcnt_hi_u32_b32 v90, v11, v8
	v_cmp_eq_u32_e32 vcc, 0, v90
	v_cmp_ne_u64_e64 s[48:49], 0, v[10:11]
	s_and_b64 s[48:49], s[48:49], vcc
	; wave barrier
	s_and_saveexec_b64 s[10:11], s[48:49]
	s_cbranch_execz .LBB25_83
; %bb.82:
	v_bcnt_u32_b32 v8, v10, 0
	v_bcnt_u32_b32 v8, v11, v8
	s_waitcnt lgkmcnt(0)
	v_add_u32_e32 v8, v88, v8
	ds_write_b32 v89, v8 offset:16
.LBB25_83:
	s_or_b64 exec, exec, s[10:11]
	v_lshrrev_b32_e32 v8, s8, v29
	v_and_b32_e32 v93, s33, v8
	v_mul_lo_u32 v8, v93, 20
	v_lshl_add_u32 v92, v43, 2, v8
	v_and_b32_e32 v8, 1, v93
	v_lshl_add_u64 v[10:11], v[8:9], 0, -1
	v_cmp_ne_u32_e32 vcc, 0, v8
	; wave barrier
	s_nop 1
	v_xor_b32_e32 v10, vcc_lo, v10
	v_xor_b32_e32 v8, vcc_hi, v11
	v_and_b32_e32 v94, exec_lo, v10
	v_lshlrev_b32_e32 v11, 30, v93
	v_mov_b32_e32 v10, v9
	v_cmp_gt_i64_e32 vcc, 0, v[10:11]
	v_not_b32_e32 v10, v11
	v_ashrrev_i32_e32 v10, 31, v10
	v_and_b32_e32 v8, exec_hi, v8
	v_xor_b32_e32 v11, vcc_hi, v10
	v_xor_b32_e32 v10, vcc_lo, v10
	v_and_b32_e32 v8, v8, v11
	v_and_b32_e32 v94, v94, v10
	v_lshlrev_b32_e32 v11, 29, v93
	v_mov_b32_e32 v10, v9
	v_cmp_gt_i64_e32 vcc, 0, v[10:11]
	v_not_b32_e32 v10, v11
	v_ashrrev_i32_e32 v10, 31, v10
	v_xor_b32_e32 v11, vcc_hi, v10
	v_xor_b32_e32 v10, vcc_lo, v10
	v_and_b32_e32 v8, v8, v11
	v_and_b32_e32 v94, v94, v10
	v_lshlrev_b32_e32 v11, 28, v93
	v_mov_b32_e32 v10, v9
	v_cmp_gt_i64_e32 vcc, 0, v[10:11]
	v_not_b32_e32 v10, v11
	v_ashrrev_i32_e32 v10, 31, v10
	;; [unrolled: 9-line block ×5, first 2 shown]
	v_xor_b32_e32 v11, vcc_hi, v10
	v_xor_b32_e32 v10, vcc_lo, v10
	v_and_b32_e32 v8, v8, v11
	v_lshlrev_b32_e32 v11, 24, v93
	v_and_b32_e32 v94, v94, v10
	v_mov_b32_e32 v10, v9
	v_not_b32_e32 v9, v11
	v_cmp_gt_i64_e32 vcc, 0, v[10:11]
	v_ashrrev_i32_e32 v9, 31, v9
	ds_read_b32 v91, v92 offset:16
	v_xor_b32_e32 v10, vcc_hi, v9
	v_xor_b32_e32 v11, vcc_lo, v9
	v_and_b32_e32 v9, v8, v10
	v_and_b32_e32 v8, v94, v11
	v_mbcnt_lo_u32_b32 v10, v8, 0
	v_mbcnt_hi_u32_b32 v93, v9, v10
	v_cmp_eq_u32_e32 vcc, 0, v93
	v_cmp_ne_u64_e64 s[48:49], 0, v[8:9]
	s_and_b64 s[48:49], s[48:49], vcc
	; wave barrier
	s_and_saveexec_b64 s[10:11], s[48:49]
	s_cbranch_execz .LBB25_85
; %bb.84:
	v_bcnt_u32_b32 v8, v8, 0
	v_bcnt_u32_b32 v8, v9, v8
	s_waitcnt lgkmcnt(0)
	v_add_u32_e32 v8, v91, v8
	ds_write_b32 v92, v8 offset:16
.LBB25_85:
	s_or_b64 exec, exec, s[10:11]
	v_lshrrev_b32_e32 v8, s8, v32
	v_and_b32_e32 v96, s33, v8
	v_mul_lo_u32 v8, v96, 20
	v_lshl_add_u32 v95, v43, 2, v8
	v_and_b32_e32 v8, 1, v96
	v_mov_b32_e32 v9, 0
	v_lshl_add_u64 v[10:11], v[8:9], 0, -1
	v_cmp_ne_u32_e32 vcc, 0, v8
	; wave barrier
	s_nop 1
	v_xor_b32_e32 v10, vcc_lo, v10
	v_xor_b32_e32 v8, vcc_hi, v11
	v_and_b32_e32 v97, exec_lo, v10
	v_lshlrev_b32_e32 v11, 30, v96
	v_mov_b32_e32 v10, v9
	v_cmp_gt_i64_e32 vcc, 0, v[10:11]
	v_not_b32_e32 v10, v11
	v_ashrrev_i32_e32 v10, 31, v10
	v_and_b32_e32 v8, exec_hi, v8
	v_xor_b32_e32 v11, vcc_hi, v10
	v_xor_b32_e32 v10, vcc_lo, v10
	v_and_b32_e32 v8, v8, v11
	v_and_b32_e32 v97, v97, v10
	v_lshlrev_b32_e32 v11, 29, v96
	v_mov_b32_e32 v10, v9
	v_cmp_gt_i64_e32 vcc, 0, v[10:11]
	v_not_b32_e32 v10, v11
	v_ashrrev_i32_e32 v10, 31, v10
	v_xor_b32_e32 v11, vcc_hi, v10
	v_xor_b32_e32 v10, vcc_lo, v10
	v_and_b32_e32 v8, v8, v11
	v_and_b32_e32 v97, v97, v10
	v_lshlrev_b32_e32 v11, 28, v96
	v_mov_b32_e32 v10, v9
	v_cmp_gt_i64_e32 vcc, 0, v[10:11]
	v_not_b32_e32 v10, v11
	v_ashrrev_i32_e32 v10, 31, v10
	;; [unrolled: 9-line block ×6, first 2 shown]
	v_xor_b32_e32 v11, vcc_hi, v10
	v_xor_b32_e32 v10, vcc_lo, v10
	ds_read_b32 v94, v95 offset:16
	v_and_b32_e32 v10, v97, v10
	v_and_b32_e32 v11, v8, v11
	v_mbcnt_lo_u32_b32 v8, v10, 0
	v_mbcnt_hi_u32_b32 v96, v11, v8
	v_cmp_eq_u32_e32 vcc, 0, v96
	v_cmp_ne_u64_e64 s[48:49], 0, v[10:11]
	s_and_b64 s[48:49], s[48:49], vcc
	; wave barrier
	s_and_saveexec_b64 s[10:11], s[48:49]
	s_cbranch_execz .LBB25_87
; %bb.86:
	v_bcnt_u32_b32 v8, v10, 0
	v_bcnt_u32_b32 v8, v11, v8
	s_waitcnt lgkmcnt(0)
	v_add_u32_e32 v8, v94, v8
	ds_write_b32 v95, v8 offset:16
.LBB25_87:
	s_or_b64 exec, exec, s[10:11]
	v_lshrrev_b32_e32 v8, s8, v31
	v_and_b32_e32 v98, s33, v8
	v_mul_lo_u32 v8, v98, 20
	v_lshl_add_u32 v43, v43, 2, v8
	v_and_b32_e32 v8, 1, v98
	v_lshl_add_u64 v[10:11], v[8:9], 0, -1
	v_cmp_ne_u32_e32 vcc, 0, v8
	; wave barrier
	s_nop 1
	v_xor_b32_e32 v10, vcc_lo, v10
	v_xor_b32_e32 v8, vcc_hi, v11
	v_and_b32_e32 v99, exec_lo, v10
	v_lshlrev_b32_e32 v11, 30, v98
	v_mov_b32_e32 v10, v9
	v_cmp_gt_i64_e32 vcc, 0, v[10:11]
	v_not_b32_e32 v10, v11
	v_ashrrev_i32_e32 v10, 31, v10
	v_and_b32_e32 v8, exec_hi, v8
	v_xor_b32_e32 v11, vcc_hi, v10
	v_xor_b32_e32 v10, vcc_lo, v10
	v_and_b32_e32 v8, v8, v11
	v_and_b32_e32 v99, v99, v10
	v_lshlrev_b32_e32 v11, 29, v98
	v_mov_b32_e32 v10, v9
	v_cmp_gt_i64_e32 vcc, 0, v[10:11]
	v_not_b32_e32 v10, v11
	v_ashrrev_i32_e32 v10, 31, v10
	v_xor_b32_e32 v11, vcc_hi, v10
	v_xor_b32_e32 v10, vcc_lo, v10
	v_and_b32_e32 v8, v8, v11
	v_and_b32_e32 v99, v99, v10
	v_lshlrev_b32_e32 v11, 28, v98
	v_mov_b32_e32 v10, v9
	v_cmp_gt_i64_e32 vcc, 0, v[10:11]
	v_not_b32_e32 v10, v11
	v_ashrrev_i32_e32 v10, 31, v10
	;; [unrolled: 9-line block ×5, first 2 shown]
	v_xor_b32_e32 v11, vcc_hi, v10
	v_xor_b32_e32 v10, vcc_lo, v10
	v_and_b32_e32 v8, v8, v11
	v_lshlrev_b32_e32 v11, 24, v98
	v_and_b32_e32 v99, v99, v10
	v_mov_b32_e32 v10, v9
	v_not_b32_e32 v9, v11
	v_cmp_gt_i64_e32 vcc, 0, v[10:11]
	v_ashrrev_i32_e32 v9, 31, v9
	ds_read_b32 v97, v43 offset:16
	v_xor_b32_e32 v10, vcc_hi, v9
	v_xor_b32_e32 v11, vcc_lo, v9
	v_and_b32_e32 v9, v8, v10
	v_and_b32_e32 v8, v99, v11
	v_mbcnt_lo_u32_b32 v10, v8, 0
	v_mbcnt_hi_u32_b32 v98, v9, v10
	v_cmp_eq_u32_e32 vcc, 0, v98
	v_cmp_ne_u64_e64 s[48:49], 0, v[8:9]
	s_and_b64 s[48:49], s[48:49], vcc
	; wave barrier
	s_and_saveexec_b64 s[10:11], s[48:49]
	s_cbranch_execz .LBB25_89
; %bb.88:
	v_bcnt_u32_b32 v8, v8, 0
	v_bcnt_u32_b32 v8, v9, v8
	s_waitcnt lgkmcnt(0)
	v_add_u32_e32 v8, v97, v8
	ds_write_b32 v43, v8 offset:16
.LBB25_89:
	s_or_b64 exec, exec, s[10:11]
	; wave barrier
	s_waitcnt lgkmcnt(0)
	s_barrier
	ds_read2_b32 v[10:11], v33 offset0:4 offset1:5
	ds_read2_b32 v[8:9], v33 offset0:6 offset1:7
	ds_read_b32 v99, v33 offset:32
	v_min_u32_e32 v7, 0xc0, v7
	v_or_b32_e32 v7, 63, v7
	s_waitcnt lgkmcnt(1)
	v_add3_u32 v100, v11, v10, v8
	s_waitcnt lgkmcnt(0)
	v_add3_u32 v99, v100, v9, v99
	v_and_b32_e32 v100, 15, v4
	v_cmp_ne_u32_e32 vcc, 0, v100
	v_mov_b32_dpp v101, v99 row_shr:1 row_mask:0xf bank_mask:0xf
	s_nop 0
	v_cndmask_b32_e32 v101, 0, v101, vcc
	v_add_u32_e32 v99, v101, v99
	v_cmp_lt_u32_e32 vcc, 1, v100
	s_nop 0
	v_mov_b32_dpp v101, v99 row_shr:2 row_mask:0xf bank_mask:0xf
	v_cndmask_b32_e32 v101, 0, v101, vcc
	v_add_u32_e32 v99, v99, v101
	v_cmp_lt_u32_e32 vcc, 3, v100
	s_nop 0
	v_mov_b32_dpp v101, v99 row_shr:4 row_mask:0xf bank_mask:0xf
	;; [unrolled: 5-line block ×3, first 2 shown]
	v_cndmask_b32_e32 v100, 0, v101, vcc
	v_add_u32_e32 v99, v99, v100
	v_bfe_i32 v101, v4, 4, 1
	v_cmp_lt_u32_e32 vcc, 31, v4
	v_mov_b32_dpp v100, v99 row_bcast:15 row_mask:0xf bank_mask:0xf
	v_and_b32_e32 v100, v101, v100
	v_add_u32_e32 v99, v99, v100
	s_nop 1
	v_mov_b32_dpp v100, v99 row_bcast:31 row_mask:0xf bank_mask:0xf
	v_cndmask_b32_e32 v100, 0, v100, vcc
	v_add_u32_e32 v99, v99, v100
	v_lshrrev_b32_e32 v100, 6, v2
	v_cmp_eq_u32_e32 vcc, v2, v7
	s_and_saveexec_b64 s[10:11], vcc
; %bb.90:
	v_lshlrev_b32_e32 v7, 2, v100
	ds_write_b32 v7, v99
; %bb.91:
	s_or_b64 exec, exec, s[10:11]
	v_cmp_gt_u32_e32 vcc, 4, v2
	s_waitcnt lgkmcnt(0)
	s_barrier
	s_and_saveexec_b64 s[10:11], vcc
	s_cbranch_execz .LBB25_93
; %bb.92:
	v_lshlrev_b32_e32 v7, 2, v2
	ds_read_b32 v101, v7
	v_and_b32_e32 v102, 3, v4
	v_cmp_ne_u32_e32 vcc, 0, v102
	s_waitcnt lgkmcnt(0)
	v_mov_b32_dpp v103, v101 row_shr:1 row_mask:0xf bank_mask:0xf
	v_cndmask_b32_e32 v103, 0, v103, vcc
	v_add_u32_e32 v101, v103, v101
	v_cmp_lt_u32_e32 vcc, 1, v102
	s_nop 0
	v_mov_b32_dpp v103, v101 row_shr:2 row_mask:0xf bank_mask:0xf
	v_cndmask_b32_e32 v102, 0, v103, vcc
	v_add_u32_e32 v101, v101, v102
	ds_write_b32 v7, v101
.LBB25_93:
	s_or_b64 exec, exec, s[10:11]
	v_cmp_lt_u32_e32 vcc, 63, v2
	v_mov_b32_e32 v7, 0
	s_waitcnt lgkmcnt(0)
	s_barrier
	s_and_saveexec_b64 s[10:11], vcc
; %bb.94:
	v_lshl_add_u32 v7, v100, 2, -4
	ds_read_b32 v7, v7
; %bb.95:
	s_or_b64 exec, exec, s[10:11]
	v_add_u32_e32 v100, -1, v4
	v_and_b32_e32 v101, 64, v4
	v_cmp_lt_i32_e32 vcc, v100, v101
	s_waitcnt lgkmcnt(0)
	v_add_u32_e32 v99, v7, v99
	s_movk_i32 s4, 0x100
	v_cndmask_b32_e32 v100, v100, v4, vcc
	v_lshlrev_b32_e32 v100, 2, v100
	ds_bpermute_b32 v99, v100, v99
	v_cmp_eq_u32_e32 vcc, 0, v4
	s_waitcnt lgkmcnt(0)
	s_nop 0
	v_cndmask_b32_e32 v7, v99, v7, vcc
	v_cmp_ne_u32_e32 vcc, 0, v2
	s_nop 1
	v_cndmask_b32_e32 v7, 0, v7, vcc
	v_add_u32_e32 v10, v7, v10
	v_add_u32_e32 v11, v10, v11
	;; [unrolled: 1-line block ×4, first 2 shown]
	ds_write2_b32 v33, v7, v10 offset0:4 offset1:5
	ds_write2_b32 v33, v11, v8 offset0:6 offset1:7
	ds_write_b32 v33, v9 offset:32
	s_waitcnt lgkmcnt(0)
	s_barrier
	ds_read_b32 v10, v56 offset:16
	ds_read_b32 v11, v59 offset:16
	;; [unrolled: 1-line block ×23, first 2 shown]
	v_add_u32_e32 v7, 1, v2
	v_cmp_ne_u32_e32 vcc, s4, v7
	v_mov_b32_e32 v9, 0x1600
	s_and_saveexec_b64 s[10:11], vcc
; %bb.96:
	v_mul_u32_u24_e32 v7, 20, v7
	ds_read_b32 v9, v7 offset:16
; %bb.97:
	s_or_b64 exec, exec, s[10:11]
	s_waitcnt lgkmcnt(7)
	v_add_u32_e32 v33, v35, v34
	s_waitcnt lgkmcnt(6)
	v_add3_u32 v34, v38, v36, v37
	s_waitcnt lgkmcnt(5)
	v_add3_u32 v35, v41, v39, v40
	v_add3_u32 v40, v57, v55, v10
	v_lshlrev_b32_e32 v10, 2, v33
	s_waitcnt lgkmcnt(0)
	s_barrier
	ds_write_b32 v10, v12 offset:2048
	v_lshlrev_b32_e32 v10, 2, v34
	v_add3_u32 v36, v45, v42, v43
	ds_write_b32 v10, v3 offset:2048
	v_lshlrev_b32_e32 v3, 2, v35
	v_add3_u32 v37, v48, v46, v44
	;; [unrolled: 3-line block ×4, first 2 shown]
	ds_write_b32 v3, v16 offset:2048
	v_lshlrev_b32_e32 v3, 2, v38
	ds_write_b32 v3, v15 offset:2048
	v_lshlrev_b32_e32 v3, 2, v39
	v_add3_u32 v41, v60, v58, v11
	ds_write_b32 v3, v18 offset:2048
	v_lshlrev_b32_e32 v3, 2, v40
	v_add3_u32 v42, v63, v61, v56
	ds_write_b32 v3, v17 offset:2048
	v_lshlrev_b32_e32 v3, 2, v41
	v_add3_u32 v43, v66, v64, v59
	ds_write_b32 v3, v20 offset:2048
	v_lshlrev_b32_e32 v3, 2, v42
	v_add3_u32 v44, v69, v67, v62
	ds_write_b32 v3, v19 offset:2048
	v_lshlrev_b32_e32 v3, 2, v43
	v_add3_u32 v45, v72, v70, v65
	ds_write_b32 v3, v22 offset:2048
	v_lshlrev_b32_e32 v3, 2, v44
	v_add3_u32 v46, v75, v73, v68
	ds_write_b32 v3, v21 offset:2048
	v_lshlrev_b32_e32 v3, 2, v45
	v_add3_u32 v47, v78, v76, v71
	ds_write_b32 v3, v24 offset:2048
	v_lshlrev_b32_e32 v3, 2, v46
	v_add3_u32 v48, v81, v79, v74
	ds_write_b32 v3, v23 offset:2048
	v_lshlrev_b32_e32 v3, 2, v47
	v_add3_u32 v49, v84, v82, v77
	ds_write_b32 v3, v26 offset:2048
	v_lshlrev_b32_e32 v3, 2, v48
	v_add3_u32 v50, v87, v85, v80
	ds_write_b32 v3, v25 offset:2048
	v_lshlrev_b32_e32 v3, 2, v49
	v_add3_u32 v51, v90, v88, v83
	ds_write_b32 v3, v28 offset:2048
	v_lshlrev_b32_e32 v3, 2, v50
	v_add3_u32 v52, v93, v91, v86
	ds_write_b32 v3, v27 offset:2048
	v_lshlrev_b32_e32 v3, 2, v51
	v_add3_u32 v53, v96, v94, v89
	ds_write_b32 v3, v30 offset:2048
	v_lshlrev_b32_e32 v3, 2, v52
	v_add3_u32 v54, v98, v97, v92
	ds_write_b32 v3, v29 offset:2048
	v_lshlrev_b32_e32 v3, 2, v53
	ds_write_b32 v3, v32 offset:2048
	v_lshlrev_b32_e32 v3, 2, v54
	v_sub_u32_e32 v10, v9, v8
	v_lshl_add_u32 v14, s2, 8, v2
	v_mov_b32_e32 v15, 0
	v_mov_b32_e32 v7, v5
	ds_write_b32 v3, v31 offset:2048
	v_lshl_add_u64 v[12:13], v[14:15], 2, s[90:91]
	v_or_b32_e32 v3, 2.0, v10
	s_mov_b64 s[48:49], 0
	s_brev_b32 s52, -4
	s_mov_b32 s53, s3
	v_mov_b32_e32 v9, 0
	s_waitcnt lgkmcnt(0)
	s_barrier
	global_store_dword v[12:13], v3, off sc1
                                        ; implicit-def: $sgpr50_sgpr51
	s_branch .LBB25_100
.LBB25_98:                              ;   in Loop: Header=BB25_100 Depth=1
	s_or_b64 exec, exec, s[10:11]
.LBB25_99:                              ;   in Loop: Header=BB25_100 Depth=1
	s_or_b64 exec, exec, s[50:51]
	v_and_b32_e32 v11, 0x3fffffff, v3
	v_add_u32_e32 v9, v11, v9
	v_cmp_gt_i32_e64 s[50:51], -2.0, v3
	s_and_b64 s[10:11], exec, s[50:51]
	s_or_b64 s[48:49], s[10:11], s[48:49]
	s_andn2_b64 exec, exec, s[48:49]
	s_cbranch_execz .LBB25_105
.LBB25_100:                             ; =>This Loop Header: Depth=1
                                        ;     Child Loop BB25_103 Depth 2
	s_or_b64 s[50:51], s[50:51], exec
	s_cmp_eq_u32 s53, 0
	s_cbranch_scc1 .LBB25_104
; %bb.101:                              ;   in Loop: Header=BB25_100 Depth=1
	s_add_i32 s53, s53, -1
	v_lshl_add_u32 v14, s53, 8, v2
	v_lshl_add_u64 v[16:17], v[14:15], 2, s[90:91]
	global_load_dword v3, v[16:17], off sc1
	s_waitcnt vmcnt(0)
	v_cmp_gt_u32_e32 vcc, 2.0, v3
	s_and_saveexec_b64 s[50:51], vcc
	s_cbranch_execz .LBB25_99
; %bb.102:                              ;   in Loop: Header=BB25_100 Depth=1
	s_mov_b64 s[10:11], 0
.LBB25_103:                             ;   Parent Loop BB25_100 Depth=1
                                        ; =>  This Inner Loop Header: Depth=2
	global_load_dword v3, v[16:17], off sc1
	s_waitcnt vmcnt(0)
	v_cmp_lt_u32_e32 vcc, s52, v3
	s_or_b64 s[10:11], vcc, s[10:11]
	s_andn2_b64 exec, exec, s[10:11]
	s_cbranch_execnz .LBB25_103
	s_branch .LBB25_98
.LBB25_104:                             ;   in Loop: Header=BB25_100 Depth=1
                                        ; implicit-def: $sgpr53
	s_and_b64 s[10:11], exec, s[50:51]
	s_or_b64 s[48:49], s[10:11], s[48:49]
	s_andn2_b64 exec, exec, s[48:49]
	s_cbranch_execnz .LBB25_100
.LBB25_105:
	s_or_b64 exec, exec, s[48:49]
	s_load_dwordx4 s[48:51], s[0:1], 0x28
	v_add_u32_e32 v3, v9, v10
	v_or_b32_e32 v3, 0x80000000, v3
	v_lshlrev_b32_e32 v11, 3, v2
	global_store_dword v[12:13], v3, off sc1
	s_waitcnt lgkmcnt(0)
	global_load_dwordx2 v[12:13], v11, s[48:49]
	v_sub_co_u32_e32 v14, vcc, v9, v8
	v_mov_b32_e32 v3, 0
	s_nop 0
	v_subb_co_u32_e64 v15, s[10:11], 0, 0, vcc
	v_mov_b32_e32 v9, v3
	v_cmp_gt_u32_e32 vcc, s7, v2
	s_waitcnt vmcnt(0)
	v_lshl_add_u64 v[12:13], v[14:15], 0, v[12:13]
	ds_write_b64 v11, v[12:13]
	s_waitcnt lgkmcnt(0)
	s_barrier
	s_and_saveexec_b64 s[48:49], vcc
	s_cbranch_execz .LBB25_107
; %bb.106:
	v_lshlrev_b32_e32 v12, 2, v2
	v_sub_u32_e32 v12, v11, v12
	ds_read_b32 v15, v12 offset:2048
	v_lshlrev_b32_e32 v14, 2, v2
	s_waitcnt lgkmcnt(0)
	v_lshrrev_b32_e32 v12, s8, v15
	v_and_b32_e32 v12, s33, v12
	v_lshlrev_b32_e32 v12, 3, v12
	ds_read_b64 v[12:13], v12
	v_xor_b32_e32 v16, 0x80000000, v15
	v_mov_b32_e32 v15, v3
	s_waitcnt lgkmcnt(0)
	v_lshl_add_u64 v[12:13], v[12:13], 2, s[94:95]
	v_lshl_add_u64 v[12:13], v[12:13], 0, v[14:15]
	global_store_dword v[12:13], v16, off
.LBB25_107:
	s_or_b64 exec, exec, s[48:49]
	v_add_u32_e32 v12, 0x100, v2
	v_cmp_gt_u32_e64 s[48:49], s7, v12
	s_and_saveexec_b64 s[50:51], s[48:49]
	s_cbranch_execz .LBB25_109
; %bb.108:
	v_lshlrev_b32_e32 v12, 2, v2
	v_sub_u32_e32 v12, v11, v12
	ds_read_b32 v15, v12 offset:3072
	v_lshlrev_b32_e32 v14, 2, v2
	s_waitcnt lgkmcnt(0)
	v_lshrrev_b32_e32 v12, s8, v15
	v_and_b32_e32 v12, s33, v12
	v_lshlrev_b32_e32 v12, 3, v12
	ds_read_b64 v[12:13], v12
	v_xor_b32_e32 v16, 0x80000000, v15
	v_mov_b32_e32 v15, 0
	s_waitcnt lgkmcnt(0)
	v_lshl_add_u64 v[12:13], v[12:13], 2, s[94:95]
	v_lshl_add_u64 v[12:13], v[12:13], 0, v[14:15]
	global_store_dword v[12:13], v16, off offset:1024
.LBB25_109:
	s_or_b64 exec, exec, s[50:51]
	v_add_u32_e32 v12, 0x200, v2
	v_cmp_gt_u32_e64 s[50:51], s7, v12
	s_and_saveexec_b64 s[52:53], s[50:51]
	s_cbranch_execz .LBB25_111
; %bb.110:
	v_lshlrev_b32_e32 v12, 2, v2
	v_sub_u32_e32 v12, v11, v12
	ds_read_b32 v15, v12 offset:4096
	v_lshlrev_b32_e32 v14, 2, v2
	s_waitcnt lgkmcnt(0)
	v_lshrrev_b32_e32 v12, s8, v15
	v_and_b32_e32 v12, s33, v12
	v_lshlrev_b32_e32 v12, 3, v12
	ds_read_b64 v[12:13], v12
	v_xor_b32_e32 v16, 0x80000000, v15
	v_mov_b32_e32 v15, 0
	s_waitcnt lgkmcnt(0)
	v_lshl_add_u64 v[12:13], v[12:13], 2, s[94:95]
	v_lshl_add_u64 v[12:13], v[12:13], 0, v[14:15]
	global_store_dword v[12:13], v16, off offset:2048
.LBB25_111:
	;; [unrolled: 22-line block ×3, first 2 shown]
	s_or_b64 exec, exec, s[54:55]
	v_or_b32_e32 v12, 0x400, v2
	v_cmp_gt_u32_e64 s[54:55], s7, v12
	s_and_saveexec_b64 s[56:57], s[54:55]
	s_cbranch_execz .LBB25_115
; %bb.114:
	v_lshlrev_b32_e32 v13, 2, v2
	v_sub_u32_e32 v13, v11, v13
	ds_read_b32 v13, v13 offset:6144
	v_lshlrev_b32_e32 v12, 2, v12
	s_waitcnt lgkmcnt(0)
	v_lshrrev_b32_e32 v14, s8, v13
	v_and_b32_e32 v14, s33, v14
	v_lshlrev_b32_e32 v14, 3, v14
	ds_read_b64 v[14:15], v14
	v_xor_b32_e32 v16, 0x80000000, v13
	v_mov_b32_e32 v13, 0
	s_waitcnt lgkmcnt(0)
	v_lshl_add_u64 v[14:15], v[14:15], 2, s[94:95]
	v_lshl_add_u64 v[12:13], v[14:15], 0, v[12:13]
	global_store_dword v[12:13], v16, off
.LBB25_115:
	s_or_b64 exec, exec, s[56:57]
	v_add_u32_e32 v12, 0x500, v2
	v_cmp_gt_u32_e64 s[56:57], s7, v12
	s_and_saveexec_b64 s[58:59], s[56:57]
	s_cbranch_execz .LBB25_117
; %bb.116:
	v_lshlrev_b32_e32 v13, 2, v2
	v_sub_u32_e32 v13, v11, v13
	ds_read_b32 v13, v13 offset:7168
	v_lshlrev_b32_e32 v12, 2, v12
	s_waitcnt lgkmcnt(0)
	v_lshrrev_b32_e32 v14, s8, v13
	v_and_b32_e32 v14, s33, v14
	v_lshlrev_b32_e32 v14, 3, v14
	ds_read_b64 v[14:15], v14
	v_xor_b32_e32 v16, 0x80000000, v13
	v_mov_b32_e32 v13, 0
	s_waitcnt lgkmcnt(0)
	v_lshl_add_u64 v[14:15], v[14:15], 2, s[94:95]
	v_lshl_add_u64 v[12:13], v[14:15], 0, v[12:13]
	global_store_dword v[12:13], v16, off
.LBB25_117:
	s_or_b64 exec, exec, s[58:59]
	v_add_u32_e32 v12, 0x600, v2
	;; [unrolled: 22-line block ×3, first 2 shown]
	v_cmp_gt_u32_e64 s[60:61], s7, v12
	s_and_saveexec_b64 s[62:63], s[60:61]
	s_cbranch_execz .LBB25_121
; %bb.120:
	v_lshlrev_b32_e32 v13, 2, v2
	ds_read_b32 v13, v13 offset:9216
	v_lshlrev_b32_e32 v12, 2, v12
	s_waitcnt lgkmcnt(0)
	v_lshrrev_b32_e32 v14, s8, v13
	v_and_b32_e32 v14, s33, v14
	v_lshlrev_b32_e32 v14, 3, v14
	ds_read_b64 v[14:15], v14
	v_xor_b32_e32 v16, 0x80000000, v13
	v_mov_b32_e32 v13, 0
	s_waitcnt lgkmcnt(0)
	v_lshl_add_u64 v[14:15], v[14:15], 2, s[94:95]
	v_lshl_add_u64 v[12:13], v[14:15], 0, v[12:13]
	global_store_dword v[12:13], v16, off
.LBB25_121:
	s_or_b64 exec, exec, s[62:63]
	v_or_b32_e32 v12, 0x800, v2
	v_cmp_gt_u32_e64 s[62:63], s7, v12
	s_and_saveexec_b64 s[64:65], s[62:63]
	s_cbranch_execz .LBB25_123
; %bb.122:
	v_lshlrev_b32_e32 v13, 2, v2
	ds_read_b32 v13, v13 offset:10240
	v_lshlrev_b32_e32 v12, 2, v12
	s_waitcnt lgkmcnt(0)
	v_lshrrev_b32_e32 v14, s8, v13
	v_and_b32_e32 v14, s33, v14
	v_lshlrev_b32_e32 v14, 3, v14
	ds_read_b64 v[14:15], v14
	v_xor_b32_e32 v16, 0x80000000, v13
	v_mov_b32_e32 v13, 0
	s_waitcnt lgkmcnt(0)
	v_lshl_add_u64 v[14:15], v[14:15], 2, s[94:95]
	v_lshl_add_u64 v[12:13], v[14:15], 0, v[12:13]
	global_store_dword v[12:13], v16, off
.LBB25_123:
	s_or_b64 exec, exec, s[64:65]
	v_add_u32_e32 v12, 0x900, v2
	v_cmp_gt_u32_e64 s[64:65], s7, v12
	s_and_saveexec_b64 s[66:67], s[64:65]
	s_cbranch_execz .LBB25_125
; %bb.124:
	v_lshlrev_b32_e32 v13, 2, v2
	ds_read_b32 v13, v13 offset:11264
	v_lshlrev_b32_e32 v12, 2, v12
	s_waitcnt lgkmcnt(0)
	v_lshrrev_b32_e32 v14, s8, v13
	v_and_b32_e32 v14, s33, v14
	v_lshlrev_b32_e32 v14, 3, v14
	ds_read_b64 v[14:15], v14
	v_xor_b32_e32 v16, 0x80000000, v13
	v_mov_b32_e32 v13, 0
	s_waitcnt lgkmcnt(0)
	v_lshl_add_u64 v[14:15], v[14:15], 2, s[94:95]
	v_lshl_add_u64 v[12:13], v[14:15], 0, v[12:13]
	global_store_dword v[12:13], v16, off
.LBB25_125:
	s_or_b64 exec, exec, s[66:67]
	v_add_u32_e32 v12, 0xa00, v2
	;; [unrolled: 21-line block ×3, first 2 shown]
	v_cmp_gt_u32_e64 s[68:69], s7, v12
	s_and_saveexec_b64 s[70:71], s[68:69]
	s_cbranch_execz .LBB25_129
; %bb.128:
	v_lshlrev_b32_e32 v13, 2, v2
	ds_read_b32 v13, v13 offset:13312
	v_lshlrev_b32_e32 v12, 2, v12
	s_waitcnt lgkmcnt(0)
	v_lshrrev_b32_e32 v14, s8, v13
	v_and_b32_e32 v14, s33, v14
	v_lshlrev_b32_e32 v14, 3, v14
	ds_read_b64 v[14:15], v14
	v_xor_b32_e32 v16, 0x80000000, v13
	v_mov_b32_e32 v13, 0
	s_waitcnt lgkmcnt(0)
	v_lshl_add_u64 v[14:15], v[14:15], 2, s[94:95]
	v_lshl_add_u64 v[12:13], v[14:15], 0, v[12:13]
	global_store_dword v[12:13], v16, off
.LBB25_129:
	s_or_b64 exec, exec, s[70:71]
	v_or_b32_e32 v12, 0xc00, v2
	v_cmp_gt_u32_e64 s[70:71], s7, v12
	s_and_saveexec_b64 s[72:73], s[70:71]
	s_cbranch_execz .LBB25_131
; %bb.130:
	v_lshlrev_b32_e32 v13, 2, v2
	ds_read_b32 v13, v13 offset:14336
	v_lshlrev_b32_e32 v12, 2, v12
	s_waitcnt lgkmcnt(0)
	v_lshrrev_b32_e32 v14, s8, v13
	v_and_b32_e32 v14, s33, v14
	v_lshlrev_b32_e32 v14, 3, v14
	ds_read_b64 v[14:15], v14
	v_xor_b32_e32 v16, 0x80000000, v13
	v_mov_b32_e32 v13, 0
	s_waitcnt lgkmcnt(0)
	v_lshl_add_u64 v[14:15], v[14:15], 2, s[94:95]
	v_lshl_add_u64 v[12:13], v[14:15], 0, v[12:13]
	global_store_dword v[12:13], v16, off
.LBB25_131:
	s_or_b64 exec, exec, s[72:73]
	v_add_u32_e32 v12, 0xd00, v2
	v_cmp_gt_u32_e64 s[72:73], s7, v12
	s_and_saveexec_b64 s[74:75], s[72:73]
	s_cbranch_execz .LBB25_133
; %bb.132:
	v_lshlrev_b32_e32 v13, 2, v2
	ds_read_b32 v13, v13 offset:15360
	v_lshlrev_b32_e32 v12, 2, v12
	s_waitcnt lgkmcnt(0)
	v_lshrrev_b32_e32 v14, s8, v13
	v_and_b32_e32 v14, s33, v14
	v_lshlrev_b32_e32 v14, 3, v14
	ds_read_b64 v[14:15], v14
	v_xor_b32_e32 v16, 0x80000000, v13
	v_mov_b32_e32 v13, 0
	s_waitcnt lgkmcnt(0)
	v_lshl_add_u64 v[14:15], v[14:15], 2, s[94:95]
	v_lshl_add_u64 v[12:13], v[14:15], 0, v[12:13]
	global_store_dword v[12:13], v16, off
.LBB25_133:
	s_or_b64 exec, exec, s[74:75]
	v_add_u32_e32 v12, 0xe00, v2
	;; [unrolled: 21-line block ×3, first 2 shown]
	v_cmp_gt_u32_e64 s[76:77], s7, v12
	s_and_saveexec_b64 s[78:79], s[76:77]
	s_cbranch_execz .LBB25_137
; %bb.136:
	v_lshlrev_b32_e32 v13, 2, v2
	ds_read_b32 v13, v13 offset:17408
	v_lshlrev_b32_e32 v12, 2, v12
	s_waitcnt lgkmcnt(0)
	v_lshrrev_b32_e32 v14, s8, v13
	v_and_b32_e32 v14, s33, v14
	v_lshlrev_b32_e32 v14, 3, v14
	ds_read_b64 v[14:15], v14
	v_xor_b32_e32 v16, 0x80000000, v13
	v_mov_b32_e32 v13, 0
	s_waitcnt lgkmcnt(0)
	v_lshl_add_u64 v[14:15], v[14:15], 2, s[94:95]
	v_lshl_add_u64 v[12:13], v[14:15], 0, v[12:13]
	global_store_dword v[12:13], v16, off
.LBB25_137:
	s_or_b64 exec, exec, s[78:79]
	v_or_b32_e32 v12, 0x1000, v2
	v_cmp_gt_u32_e64 s[78:79], s7, v12
	s_and_saveexec_b64 s[80:81], s[78:79]
	s_cbranch_execz .LBB25_139
; %bb.138:
	v_lshlrev_b32_e32 v13, 2, v2
	ds_read_b32 v13, v13 offset:18432
	v_lshlrev_b32_e32 v16, 2, v12
	v_mov_b32_e32 v17, 0
	s_waitcnt lgkmcnt(0)
	v_lshrrev_b32_e32 v14, s8, v13
	v_and_b32_e32 v14, s33, v14
	v_lshlrev_b32_e32 v14, 3, v14
	ds_read_b64 v[14:15], v14
	v_xor_b32_e32 v13, 0x80000000, v13
	s_waitcnt lgkmcnt(0)
	v_lshl_add_u64 v[14:15], v[14:15], 2, s[94:95]
	v_lshl_add_u64 v[14:15], v[14:15], 0, v[16:17]
	global_store_dword v[14:15], v13, off
.LBB25_139:
	s_or_b64 exec, exec, s[80:81]
	v_add_u32_e32 v14, 0x1100, v2
	v_cmp_gt_u32_e64 s[80:81], s7, v14
	s_and_saveexec_b64 s[82:83], s[80:81]
	s_cbranch_execz .LBB25_141
; %bb.140:
	v_lshlrev_b32_e32 v13, 2, v2
	ds_read_b32 v13, v13 offset:19456
	v_lshlrev_b32_e32 v18, 2, v14
	v_mov_b32_e32 v19, 0
	s_waitcnt lgkmcnt(0)
	v_lshrrev_b32_e32 v15, s8, v13
	v_and_b32_e32 v15, s33, v15
	v_lshlrev_b32_e32 v15, 3, v15
	ds_read_b64 v[16:17], v15
	v_xor_b32_e32 v13, 0x80000000, v13
	s_waitcnt lgkmcnt(0)
	v_lshl_add_u64 v[16:17], v[16:17], 2, s[94:95]
	v_lshl_add_u64 v[16:17], v[16:17], 0, v[18:19]
	global_store_dword v[16:17], v13, off
.LBB25_141:
	s_or_b64 exec, exec, s[82:83]
	v_add_u32_e32 v16, 0x1200, v2
	;; [unrolled: 21-line block ×3, first 2 shown]
	v_cmp_gt_u32_e64 s[84:85], s7, v18
	s_and_saveexec_b64 s[86:87], s[84:85]
	s_cbranch_execz .LBB25_145
; %bb.144:
	v_lshlrev_b32_e32 v13, 2, v2
	ds_read_b32 v13, v13 offset:21504
	v_lshlrev_b32_e32 v22, 2, v18
	v_mov_b32_e32 v23, 0
	s_waitcnt lgkmcnt(0)
	v_lshrrev_b32_e32 v15, s8, v13
	v_and_b32_e32 v15, s33, v15
	v_lshlrev_b32_e32 v15, 3, v15
	ds_read_b64 v[20:21], v15
	v_xor_b32_e32 v13, 0x80000000, v13
	s_waitcnt lgkmcnt(0)
	v_lshl_add_u64 v[20:21], v[20:21], 2, s[94:95]
	v_lshl_add_u64 v[20:21], v[20:21], 0, v[22:23]
	global_store_dword v[20:21], v13, off
.LBB25_145:
	s_or_b64 exec, exec, s[86:87]
	v_or_b32_e32 v20, 0x1400, v2
	v_cmp_gt_u32_e64 s[86:87], s7, v20
	s_and_saveexec_b64 s[88:89], s[86:87]
	s_cbranch_execz .LBB25_147
; %bb.146:
	v_lshlrev_b32_e32 v13, 2, v2
	ds_read_b32 v13, v13 offset:22528
	v_lshlrev_b32_e32 v24, 2, v20
	v_mov_b32_e32 v25, 0
	s_waitcnt lgkmcnt(0)
	v_lshrrev_b32_e32 v15, s8, v13
	v_and_b32_e32 v15, s33, v15
	v_lshlrev_b32_e32 v15, 3, v15
	ds_read_b64 v[22:23], v15
	v_xor_b32_e32 v13, 0x80000000, v13
	s_waitcnt lgkmcnt(0)
	v_lshl_add_u64 v[22:23], v[22:23], 2, s[94:95]
	v_lshl_add_u64 v[22:23], v[22:23], 0, v[24:25]
	global_store_dword v[22:23], v13, off
.LBB25_147:
	s_or_b64 exec, exec, s[88:89]
	v_add_u32_e32 v22, 0x1500, v2
	v_cmp_gt_u32_e64 s[88:89], s7, v22
	s_and_saveexec_b64 s[10:11], s[88:89]
	s_cbranch_execz .LBB25_149
; %bb.148:
	v_lshlrev_b32_e32 v13, 2, v2
	ds_read_b32 v13, v13 offset:23552
	v_lshlrev_b32_e32 v26, 2, v22
	v_mov_b32_e32 v27, 0
	s_waitcnt lgkmcnt(0)
	v_lshrrev_b32_e32 v15, s8, v13
	v_and_b32_e32 v15, s33, v15
	v_lshlrev_b32_e32 v15, 3, v15
	ds_read_b64 v[24:25], v15
	v_xor_b32_e32 v13, 0x80000000, v13
	s_waitcnt lgkmcnt(0)
	v_lshl_add_u64 v[24:25], v[24:25], 2, s[94:95]
	v_lshl_add_u64 v[24:25], v[24:25], 0, v[26:27]
	global_store_dword v[24:25], v13, off
.LBB25_149:
	s_or_b64 exec, exec, s[10:11]
	s_add_u32 s4, s96, s6
	s_addc_u32 s5, s97, 0
	v_lshl_add_u64 v[4:5], s[4:5], 0, v[4:5]
	v_readlane_b32 s10, v104, 4
	v_lshl_add_u64 v[4:5], v[4:5], 0, v[6:7]
	v_readlane_b32 s11, v104, 5
                                        ; implicit-def: $vgpr58
	s_and_saveexec_b64 s[4:5], s[10:11]
	s_xor_b64 s[10:11], exec, s[4:5]
	s_cbranch_execz .LBB25_151
; %bb.150:
	global_load_ubyte v58, v[4:5], off
.LBB25_151:
	s_or_b64 exec, exec, s[10:11]
                                        ; implicit-def: $vgpr59
	s_mov_b64 s[10:11], exec
	v_readlane_b32 s4, v104, 6
	v_readlane_b32 s5, v104, 7
	s_and_b64 s[4:5], s[10:11], s[4:5]
	s_mov_b64 exec, s[4:5]
	s_cbranch_execz .LBB25_153
; %bb.152:
	global_load_ubyte v59, v[4:5], off offset:64
.LBB25_153:
	s_or_b64 exec, exec, s[10:11]
                                        ; implicit-def: $vgpr60
	s_mov_b64 s[10:11], exec
	v_readlane_b32 s4, v104, 8
	v_readlane_b32 s5, v104, 9
	s_and_b64 s[4:5], s[10:11], s[4:5]
	s_mov_b64 exec, s[4:5]
	s_cbranch_execz .LBB25_155
; %bb.154:
	global_load_ubyte v60, v[4:5], off offset:128
.LBB25_155:
	s_or_b64 exec, exec, s[10:11]
                                        ; implicit-def: $vgpr61
	s_mov_b64 s[10:11], exec
	v_readlane_b32 s4, v104, 10
	v_readlane_b32 s5, v104, 11
	s_and_b64 s[4:5], s[10:11], s[4:5]
	s_mov_b64 exec, s[4:5]
	s_cbranch_execz .LBB25_157
; %bb.156:
	global_load_ubyte v61, v[4:5], off offset:192
.LBB25_157:
	s_or_b64 exec, exec, s[10:11]
                                        ; implicit-def: $vgpr62
	s_mov_b64 s[10:11], exec
	v_readlane_b32 s4, v104, 12
	v_readlane_b32 s5, v104, 13
	s_and_b64 s[4:5], s[10:11], s[4:5]
	s_mov_b64 exec, s[4:5]
	s_cbranch_execz .LBB25_159
; %bb.158:
	global_load_ubyte v62, v[4:5], off offset:256
.LBB25_159:
	s_or_b64 exec, exec, s[10:11]
                                        ; implicit-def: $vgpr63
	s_mov_b64 s[4:5], exec
	v_readlane_b32 s10, v104, 14
	v_readlane_b32 s11, v104, 15
	s_and_b64 s[10:11], s[4:5], s[10:11]
	s_mov_b64 exec, s[10:11]
	s_cbranch_execz .LBB25_243
; %bb.160:
	global_load_ubyte v63, v[4:5], off offset:320
	s_or_b64 exec, exec, s[4:5]
                                        ; implicit-def: $vgpr64
	s_and_saveexec_b64 s[4:5], s[14:15]
	s_cbranch_execnz .LBB25_244
.LBB25_161:
	s_or_b64 exec, exec, s[4:5]
                                        ; implicit-def: $vgpr65
	s_and_saveexec_b64 s[4:5], s[16:17]
	s_cbranch_execz .LBB25_245
.LBB25_162:
	global_load_ubyte v65, v[4:5], off offset:448
	s_or_b64 exec, exec, s[4:5]
                                        ; implicit-def: $vgpr66
	s_and_saveexec_b64 s[4:5], s[18:19]
	s_cbranch_execnz .LBB25_246
.LBB25_163:
	s_or_b64 exec, exec, s[4:5]
                                        ; implicit-def: $vgpr67
	s_and_saveexec_b64 s[4:5], s[20:21]
	s_cbranch_execz .LBB25_247
.LBB25_164:
	global_load_ubyte v67, v[4:5], off offset:576
	s_or_b64 exec, exec, s[4:5]
                                        ; implicit-def: $vgpr68
	s_and_saveexec_b64 s[4:5], s[22:23]
	s_cbranch_execnz .LBB25_248
.LBB25_165:
	s_or_b64 exec, exec, s[4:5]
                                        ; implicit-def: $vgpr69
	s_and_saveexec_b64 s[4:5], s[24:25]
	s_cbranch_execz .LBB25_249
.LBB25_166:
	global_load_ubyte v69, v[4:5], off offset:704
	s_or_b64 exec, exec, s[4:5]
                                        ; implicit-def: $vgpr70
	s_and_saveexec_b64 s[4:5], s[26:27]
	s_cbranch_execnz .LBB25_250
.LBB25_167:
	s_or_b64 exec, exec, s[4:5]
                                        ; implicit-def: $vgpr71
	s_and_saveexec_b64 s[4:5], s[28:29]
	s_cbranch_execz .LBB25_251
.LBB25_168:
	global_load_ubyte v71, v[4:5], off offset:832
	s_or_b64 exec, exec, s[4:5]
                                        ; implicit-def: $vgpr72
	s_and_saveexec_b64 s[4:5], s[30:31]
	s_cbranch_execnz .LBB25_252
.LBB25_169:
	s_or_b64 exec, exec, s[4:5]
                                        ; implicit-def: $vgpr73
	s_and_saveexec_b64 s[4:5], s[34:35]
	s_cbranch_execz .LBB25_253
.LBB25_170:
	global_load_ubyte v73, v[4:5], off offset:960
	s_or_b64 exec, exec, s[4:5]
                                        ; implicit-def: $vgpr74
	s_and_saveexec_b64 s[4:5], s[36:37]
	s_cbranch_execnz .LBB25_254
.LBB25_171:
	s_or_b64 exec, exec, s[4:5]
                                        ; implicit-def: $vgpr75
	s_and_saveexec_b64 s[4:5], s[38:39]
	s_cbranch_execz .LBB25_255
.LBB25_172:
	global_load_ubyte v75, v[4:5], off offset:1088
	s_or_b64 exec, exec, s[4:5]
                                        ; implicit-def: $vgpr76
	s_and_saveexec_b64 s[4:5], s[40:41]
	s_cbranch_execnz .LBB25_256
.LBB25_173:
	s_or_b64 exec, exec, s[4:5]
                                        ; implicit-def: $vgpr77
	s_and_saveexec_b64 s[4:5], s[42:43]
	s_cbranch_execz .LBB25_257
.LBB25_174:
	global_load_ubyte v77, v[4:5], off offset:1216
	s_or_b64 exec, exec, s[4:5]
                                        ; implicit-def: $vgpr78
	s_and_saveexec_b64 s[4:5], s[44:45]
	s_cbranch_execnz .LBB25_258
.LBB25_175:
	s_or_b64 exec, exec, s[4:5]
                                        ; implicit-def: $vgpr79
	s_and_saveexec_b64 s[4:5], s[46:47]
	s_cbranch_execz .LBB25_177
.LBB25_176:
	global_load_ubyte v79, v[4:5], off offset:1344
.LBB25_177:
	s_or_b64 exec, exec, s[4:5]
	v_mov_b32_e32 v6, 0
	v_mov_b32_e32 v27, 0
	s_and_saveexec_b64 s[4:5], vcc
	s_cbranch_execz .LBB25_179
; %bb.178:
	v_lshlrev_b32_e32 v4, 2, v2
	ds_read_b32 v4, v4 offset:2048
	s_waitcnt lgkmcnt(0)
	v_lshrrev_b32_e32 v4, s8, v4
	v_and_b32_e32 v27, s33, v4
.LBB25_179:
	s_or_b64 exec, exec, s[4:5]
	s_and_saveexec_b64 s[4:5], s[48:49]
	s_cbranch_execz .LBB25_181
; %bb.180:
	v_lshlrev_b32_e32 v4, 2, v2
	ds_read_b32 v4, v4 offset:3072
	s_waitcnt lgkmcnt(0)
	v_lshrrev_b32_e32 v4, s8, v4
	v_and_b32_e32 v6, s33, v4
.LBB25_181:
	s_or_b64 exec, exec, s[4:5]
	v_mov_b32_e32 v7, 0
	v_mov_b32_e32 v28, 0
	s_and_saveexec_b64 s[4:5], s[50:51]
	s_cbranch_execz .LBB25_183
; %bb.182:
	v_lshlrev_b32_e32 v4, 2, v2
	ds_read_b32 v4, v4 offset:4096
	s_waitcnt lgkmcnt(0)
	v_lshrrev_b32_e32 v4, s8, v4
	v_and_b32_e32 v28, s33, v4
.LBB25_183:
	s_or_b64 exec, exec, s[4:5]
	s_and_saveexec_b64 s[4:5], s[52:53]
	s_cbranch_execz .LBB25_185
; %bb.184:
	v_lshlrev_b32_e32 v4, 2, v2
	ds_read_b32 v4, v4 offset:5120
	s_waitcnt lgkmcnt(0)
	v_lshrrev_b32_e32 v4, s8, v4
	v_and_b32_e32 v7, s33, v4
.LBB25_185:
	s_or_b64 exec, exec, s[4:5]
	v_mov_b32_e32 v13, 0
	v_mov_b32_e32 v29, 0
	s_and_saveexec_b64 s[4:5], s[54:55]
	;; [unrolled: 22-line block ×10, first 2 shown]
	s_cbranch_execz .LBB25_219
; %bb.218:
	v_lshlrev_b32_e32 v25, 2, v2
	ds_read_b32 v25, v25 offset:22528
	s_waitcnt lgkmcnt(0)
	v_lshrrev_b32_e32 v25, s8, v25
	v_and_b32_e32 v25, s33, v25
.LBB25_219:
	s_or_b64 exec, exec, s[4:5]
	s_and_saveexec_b64 s[4:5], s[88:89]
	s_cbranch_execz .LBB25_221
; %bb.220:
	v_lshlrev_b32_e32 v4, 2, v2
	ds_read_b32 v4, v4 offset:23552
	s_waitcnt lgkmcnt(0)
	v_lshrrev_b32_e32 v4, s8, v4
	v_and_b32_e32 v4, s33, v4
.LBB25_221:
	s_or_b64 exec, exec, s[4:5]
	s_barrier
	s_waitcnt vmcnt(0)
	ds_write_b8 v33, v58 offset:2048
	ds_write_b8 v34, v59 offset:2048
	;; [unrolled: 1-line block ×22, first 2 shown]
	s_waitcnt lgkmcnt(0)
	s_barrier
	s_and_saveexec_b64 s[4:5], vcc
	s_cbranch_execz .LBB25_259
; %bb.222:
	v_lshlrev_b32_e32 v27, 3, v27
	ds_read_b64 v[34:35], v27
	ds_read_u8 v27, v2 offset:2048
	s_waitcnt lgkmcnt(1)
	v_lshl_add_u64 v[34:35], s[98:99], 0, v[34:35]
	v_lshl_add_u64 v[34:35], v[34:35], 0, v[2:3]
	s_waitcnt lgkmcnt(0)
	global_store_byte v[34:35], v27, off
	s_or_b64 exec, exec, s[4:5]
	s_and_saveexec_b64 s[4:5], s[48:49]
	s_cbranch_execnz .LBB25_260
.LBB25_223:
	s_or_b64 exec, exec, s[4:5]
	s_and_saveexec_b64 s[4:5], s[50:51]
	s_cbranch_execz .LBB25_261
.LBB25_224:
	v_lshlrev_b32_e32 v6, 3, v28
	ds_read_b64 v[34:35], v6
	ds_read_u8 v6, v2 offset:2560
	s_waitcnt lgkmcnt(1)
	v_lshl_add_u64 v[34:35], s[98:99], 0, v[34:35]
	v_lshl_add_u64 v[34:35], v[34:35], 0, v[2:3]
	s_waitcnt lgkmcnt(0)
	global_store_byte v[34:35], v6, off offset:512
	s_or_b64 exec, exec, s[4:5]
	s_and_saveexec_b64 s[4:5], s[52:53]
	s_cbranch_execnz .LBB25_262
.LBB25_225:
	s_or_b64 exec, exec, s[4:5]
	s_and_saveexec_b64 s[4:5], s[54:55]
	s_cbranch_execz .LBB25_263
.LBB25_226:
	v_lshlrev_b32_e32 v6, 3, v29
	ds_read_b64 v[6:7], v6
	ds_read_u8 v27, v2 offset:3072
	s_waitcnt lgkmcnt(1)
	v_lshl_add_u64 v[6:7], s[98:99], 0, v[6:7]
	v_lshl_add_u64 v[6:7], v[6:7], 0, v[2:3]
	s_waitcnt lgkmcnt(0)
	global_store_byte v[6:7], v27, off offset:1024
	s_or_b64 exec, exec, s[4:5]
	s_and_saveexec_b64 s[4:5], s[56:57]
	s_cbranch_execnz .LBB25_264
.LBB25_227:
	s_or_b64 exec, exec, s[4:5]
	s_and_saveexec_b64 s[4:5], s[58:59]
	s_cbranch_execz .LBB25_265
.LBB25_228:
	v_lshlrev_b32_e32 v6, 3, v30
	ds_read_b64 v[6:7], v6
	ds_read_u8 v13, v2 offset:3584
	s_waitcnt lgkmcnt(1)
	v_lshl_add_u64 v[6:7], s[98:99], 0, v[6:7]
	v_lshl_add_u64 v[6:7], v[6:7], 0, v[2:3]
	s_waitcnt lgkmcnt(0)
	global_store_byte v[6:7], v13, off offset:1536
	s_or_b64 exec, exec, s[4:5]
	s_and_saveexec_b64 s[4:5], s[60:61]
	s_cbranch_execnz .LBB25_266
.LBB25_229:
	s_or_b64 exec, exec, s[4:5]
	s_and_saveexec_b64 s[4:5], s[62:63]
	s_cbranch_execz .LBB25_267
.LBB25_230:
	v_lshlrev_b32_e32 v6, 3, v31
	ds_read_b64 v[6:7], v6
	ds_read_u8 v13, v2 offset:4096
	s_waitcnt lgkmcnt(1)
	v_lshl_add_u64 v[6:7], s[98:99], 0, v[6:7]
	v_lshl_add_u64 v[6:7], v[6:7], 0, v[2:3]
	s_waitcnt lgkmcnt(0)
	global_store_byte v[6:7], v13, off offset:2048
	s_or_b64 exec, exec, s[4:5]
	s_and_saveexec_b64 s[4:5], s[64:65]
	s_cbranch_execnz .LBB25_268
.LBB25_231:
	s_or_b64 exec, exec, s[4:5]
	s_and_saveexec_b64 s[4:5], s[66:67]
	s_cbranch_execz .LBB25_269
.LBB25_232:
	v_lshlrev_b32_e32 v6, 3, v32
	ds_read_b64 v[6:7], v6
	ds_read_u8 v13, v2 offset:4608
	s_waitcnt lgkmcnt(1)
	v_lshl_add_u64 v[6:7], s[98:99], 0, v[6:7]
	v_lshl_add_u64 v[6:7], v[6:7], 0, v[2:3]
	s_waitcnt lgkmcnt(0)
	global_store_byte v[6:7], v13, off offset:2560
	s_or_b64 exec, exec, s[4:5]
	s_and_saveexec_b64 s[4:5], s[68:69]
	s_cbranch_execnz .LBB25_270
.LBB25_233:
	s_or_b64 exec, exec, s[4:5]
	s_and_saveexec_b64 s[4:5], s[70:71]
	s_cbranch_execz .LBB25_271
.LBB25_234:
	v_lshlrev_b32_e32 v6, 3, v56
	ds_read_b64 v[6:7], v6
	ds_read_u8 v13, v2 offset:5120
	s_waitcnt lgkmcnt(1)
	v_lshl_add_u64 v[6:7], s[98:99], 0, v[6:7]
	v_lshl_add_u64 v[6:7], v[6:7], 0, v[2:3]
	s_waitcnt lgkmcnt(0)
	global_store_byte v[6:7], v13, off offset:3072
	s_or_b64 exec, exec, s[4:5]
	s_and_saveexec_b64 s[4:5], s[72:73]
	s_cbranch_execnz .LBB25_272
.LBB25_235:
	s_or_b64 exec, exec, s[4:5]
	s_and_saveexec_b64 s[4:5], s[74:75]
	s_cbranch_execz .LBB25_273
.LBB25_236:
	v_lshlrev_b32_e32 v6, 3, v57
	ds_read_b64 v[6:7], v6
	ds_read_u8 v13, v2 offset:5632
	s_waitcnt lgkmcnt(1)
	v_lshl_add_u64 v[6:7], s[98:99], 0, v[6:7]
	v_lshl_add_u64 v[6:7], v[6:7], 0, v[2:3]
	s_waitcnt lgkmcnt(0)
	global_store_byte v[6:7], v13, off offset:3584
	s_or_b64 exec, exec, s[4:5]
	s_and_saveexec_b64 s[4:5], s[76:77]
	s_cbranch_execnz .LBB25_274
.LBB25_237:
	s_or_b64 exec, exec, s[4:5]
	s_and_saveexec_b64 s[4:5], s[78:79]
	s_cbranch_execz .LBB25_275
.LBB25_238:
	v_lshlrev_b32_e32 v3, 3, v55
	ds_read_b64 v[6:7], v3
	ds_read_u8 v3, v2 offset:6144
	v_mov_b32_e32 v13, 0
	s_waitcnt lgkmcnt(1)
	v_lshl_add_u64 v[6:7], s[98:99], 0, v[6:7]
	v_lshl_add_u64 v[6:7], v[6:7], 0, v[12:13]
	s_waitcnt lgkmcnt(0)
	global_store_byte v[6:7], v3, off
	s_or_b64 exec, exec, s[4:5]
	s_and_saveexec_b64 s[4:5], s[80:81]
	s_cbranch_execnz .LBB25_276
.LBB25_239:
	s_or_b64 exec, exec, s[4:5]
	s_and_saveexec_b64 s[4:5], s[82:83]
	s_cbranch_execz .LBB25_277
.LBB25_240:
	v_lshlrev_b32_e32 v3, 3, v26
	ds_read_b64 v[6:7], v3
	ds_read_u8 v3, v2 offset:6656
	v_mov_b32_e32 v17, 0
	s_waitcnt lgkmcnt(1)
	v_lshl_add_u64 v[6:7], s[98:99], 0, v[6:7]
	v_lshl_add_u64 v[6:7], v[6:7], 0, v[16:17]
	s_waitcnt lgkmcnt(0)
	global_store_byte v[6:7], v3, off
	s_or_b64 exec, exec, s[4:5]
	s_and_saveexec_b64 s[4:5], s[84:85]
	s_cbranch_execnz .LBB25_278
.LBB25_241:
	s_or_b64 exec, exec, s[4:5]
	s_and_saveexec_b64 s[4:5], s[86:87]
	s_cbranch_execz .LBB25_279
.LBB25_242:
	v_lshlrev_b32_e32 v3, 3, v25
	ds_read_b64 v[6:7], v3
	ds_read_u8 v3, v2 offset:7168
	v_mov_b32_e32 v21, 0
	s_waitcnt lgkmcnt(1)
	v_lshl_add_u64 v[6:7], s[98:99], 0, v[6:7]
	v_lshl_add_u64 v[6:7], v[6:7], 0, v[20:21]
	s_waitcnt lgkmcnt(0)
	global_store_byte v[6:7], v3, off
	s_or_b64 exec, exec, s[4:5]
	s_and_saveexec_b64 s[4:5], s[88:89]
	s_cbranch_execnz .LBB25_280
	s_branch .LBB25_281
.LBB25_243:
	s_or_b64 exec, exec, s[4:5]
                                        ; implicit-def: $vgpr64
	s_and_saveexec_b64 s[4:5], s[14:15]
	s_cbranch_execz .LBB25_161
.LBB25_244:
	global_load_ubyte v64, v[4:5], off offset:384
	s_or_b64 exec, exec, s[4:5]
                                        ; implicit-def: $vgpr65
	s_and_saveexec_b64 s[4:5], s[16:17]
	s_cbranch_execnz .LBB25_162
.LBB25_245:
	s_or_b64 exec, exec, s[4:5]
                                        ; implicit-def: $vgpr66
	s_and_saveexec_b64 s[4:5], s[18:19]
	s_cbranch_execz .LBB25_163
.LBB25_246:
	global_load_ubyte v66, v[4:5], off offset:512
	s_or_b64 exec, exec, s[4:5]
                                        ; implicit-def: $vgpr67
	s_and_saveexec_b64 s[4:5], s[20:21]
	s_cbranch_execnz .LBB25_164
.LBB25_247:
	s_or_b64 exec, exec, s[4:5]
                                        ; implicit-def: $vgpr68
	s_and_saveexec_b64 s[4:5], s[22:23]
	s_cbranch_execz .LBB25_165
.LBB25_248:
	global_load_ubyte v68, v[4:5], off offset:640
	s_or_b64 exec, exec, s[4:5]
                                        ; implicit-def: $vgpr69
	s_and_saveexec_b64 s[4:5], s[24:25]
	s_cbranch_execnz .LBB25_166
.LBB25_249:
	s_or_b64 exec, exec, s[4:5]
                                        ; implicit-def: $vgpr70
	s_and_saveexec_b64 s[4:5], s[26:27]
	s_cbranch_execz .LBB25_167
.LBB25_250:
	global_load_ubyte v70, v[4:5], off offset:768
	s_or_b64 exec, exec, s[4:5]
                                        ; implicit-def: $vgpr71
	s_and_saveexec_b64 s[4:5], s[28:29]
	s_cbranch_execnz .LBB25_168
.LBB25_251:
	s_or_b64 exec, exec, s[4:5]
                                        ; implicit-def: $vgpr72
	s_and_saveexec_b64 s[4:5], s[30:31]
	s_cbranch_execz .LBB25_169
.LBB25_252:
	global_load_ubyte v72, v[4:5], off offset:896
	s_or_b64 exec, exec, s[4:5]
                                        ; implicit-def: $vgpr73
	s_and_saveexec_b64 s[4:5], s[34:35]
	s_cbranch_execnz .LBB25_170
.LBB25_253:
	s_or_b64 exec, exec, s[4:5]
                                        ; implicit-def: $vgpr74
	s_and_saveexec_b64 s[4:5], s[36:37]
	s_cbranch_execz .LBB25_171
.LBB25_254:
	global_load_ubyte v74, v[4:5], off offset:1024
	s_or_b64 exec, exec, s[4:5]
                                        ; implicit-def: $vgpr75
	s_and_saveexec_b64 s[4:5], s[38:39]
	s_cbranch_execnz .LBB25_172
.LBB25_255:
	s_or_b64 exec, exec, s[4:5]
                                        ; implicit-def: $vgpr76
	s_and_saveexec_b64 s[4:5], s[40:41]
	s_cbranch_execz .LBB25_173
.LBB25_256:
	global_load_ubyte v76, v[4:5], off offset:1152
	s_or_b64 exec, exec, s[4:5]
                                        ; implicit-def: $vgpr77
	s_and_saveexec_b64 s[4:5], s[42:43]
	s_cbranch_execnz .LBB25_174
.LBB25_257:
	s_or_b64 exec, exec, s[4:5]
                                        ; implicit-def: $vgpr78
	s_and_saveexec_b64 s[4:5], s[44:45]
	s_cbranch_execz .LBB25_175
.LBB25_258:
	global_load_ubyte v78, v[4:5], off offset:1280
	s_or_b64 exec, exec, s[4:5]
                                        ; implicit-def: $vgpr79
	s_and_saveexec_b64 s[4:5], s[46:47]
	s_cbranch_execnz .LBB25_176
	s_branch .LBB25_177
.LBB25_259:
	s_or_b64 exec, exec, s[4:5]
	s_and_saveexec_b64 s[4:5], s[48:49]
	s_cbranch_execz .LBB25_223
.LBB25_260:
	v_lshlrev_b32_e32 v6, 3, v6
	ds_read_b64 v[34:35], v6
	ds_read_u8 v6, v2 offset:2304
	s_waitcnt lgkmcnt(1)
	v_lshl_add_u64 v[34:35], s[98:99], 0, v[34:35]
	v_lshl_add_u64 v[34:35], v[34:35], 0, v[2:3]
	s_waitcnt lgkmcnt(0)
	global_store_byte v[34:35], v6, off offset:256
	s_or_b64 exec, exec, s[4:5]
	s_and_saveexec_b64 s[4:5], s[50:51]
	s_cbranch_execnz .LBB25_224
.LBB25_261:
	s_or_b64 exec, exec, s[4:5]
	s_and_saveexec_b64 s[4:5], s[52:53]
	s_cbranch_execz .LBB25_225
.LBB25_262:
	v_lshlrev_b32_e32 v6, 3, v7
	ds_read_b64 v[6:7], v6
	ds_read_u8 v27, v2 offset:2816
	s_waitcnt lgkmcnt(1)
	v_lshl_add_u64 v[6:7], s[98:99], 0, v[6:7]
	v_lshl_add_u64 v[6:7], v[6:7], 0, v[2:3]
	s_waitcnt lgkmcnt(0)
	global_store_byte v[6:7], v27, off offset:768
	s_or_b64 exec, exec, s[4:5]
	s_and_saveexec_b64 s[4:5], s[54:55]
	s_cbranch_execnz .LBB25_226
.LBB25_263:
	s_or_b64 exec, exec, s[4:5]
	s_and_saveexec_b64 s[4:5], s[56:57]
	s_cbranch_execz .LBB25_227
.LBB25_264:
	v_lshlrev_b32_e32 v6, 3, v13
	ds_read_b64 v[6:7], v6
	ds_read_u8 v13, v2 offset:3328
	s_waitcnt lgkmcnt(1)
	v_lshl_add_u64 v[6:7], s[98:99], 0, v[6:7]
	v_lshl_add_u64 v[6:7], v[6:7], 0, v[2:3]
	s_waitcnt lgkmcnt(0)
	global_store_byte v[6:7], v13, off offset:1280
	s_or_b64 exec, exec, s[4:5]
	s_and_saveexec_b64 s[4:5], s[58:59]
	s_cbranch_execnz .LBB25_228
.LBB25_265:
	s_or_b64 exec, exec, s[4:5]
	s_and_saveexec_b64 s[4:5], s[60:61]
	s_cbranch_execz .LBB25_229
.LBB25_266:
	v_lshlrev_b32_e32 v6, 3, v17
	ds_read_b64 v[6:7], v6
	ds_read_u8 v13, v2 offset:3840
	s_waitcnt lgkmcnt(1)
	v_lshl_add_u64 v[6:7], s[98:99], 0, v[6:7]
	v_lshl_add_u64 v[6:7], v[6:7], 0, v[2:3]
	s_waitcnt lgkmcnt(0)
	global_store_byte v[6:7], v13, off offset:1792
	s_or_b64 exec, exec, s[4:5]
	s_and_saveexec_b64 s[4:5], s[62:63]
	s_cbranch_execnz .LBB25_230
.LBB25_267:
	s_or_b64 exec, exec, s[4:5]
	s_and_saveexec_b64 s[4:5], s[64:65]
	s_cbranch_execz .LBB25_231
.LBB25_268:
	v_lshlrev_b32_e32 v6, 3, v19
	ds_read_b64 v[6:7], v6
	ds_read_u8 v13, v2 offset:4352
	s_waitcnt lgkmcnt(1)
	v_lshl_add_u64 v[6:7], s[98:99], 0, v[6:7]
	v_lshl_add_u64 v[6:7], v[6:7], 0, v[2:3]
	s_waitcnt lgkmcnt(0)
	global_store_byte v[6:7], v13, off offset:2304
	s_or_b64 exec, exec, s[4:5]
	s_and_saveexec_b64 s[4:5], s[66:67]
	s_cbranch_execnz .LBB25_232
.LBB25_269:
	s_or_b64 exec, exec, s[4:5]
	s_and_saveexec_b64 s[4:5], s[68:69]
	s_cbranch_execz .LBB25_233
.LBB25_270:
	v_lshlrev_b32_e32 v6, 3, v21
	ds_read_b64 v[6:7], v6
	ds_read_u8 v13, v2 offset:4864
	s_waitcnt lgkmcnt(1)
	v_lshl_add_u64 v[6:7], s[98:99], 0, v[6:7]
	v_lshl_add_u64 v[6:7], v[6:7], 0, v[2:3]
	s_waitcnt lgkmcnt(0)
	global_store_byte v[6:7], v13, off offset:2816
	s_or_b64 exec, exec, s[4:5]
	s_and_saveexec_b64 s[4:5], s[70:71]
	s_cbranch_execnz .LBB25_234
.LBB25_271:
	s_or_b64 exec, exec, s[4:5]
	s_and_saveexec_b64 s[4:5], s[72:73]
	s_cbranch_execz .LBB25_235
.LBB25_272:
	v_lshlrev_b32_e32 v6, 3, v23
	ds_read_b64 v[6:7], v6
	ds_read_u8 v13, v2 offset:5376
	s_waitcnt lgkmcnt(1)
	v_lshl_add_u64 v[6:7], s[98:99], 0, v[6:7]
	v_lshl_add_u64 v[6:7], v[6:7], 0, v[2:3]
	s_waitcnt lgkmcnt(0)
	global_store_byte v[6:7], v13, off offset:3328
	s_or_b64 exec, exec, s[4:5]
	s_and_saveexec_b64 s[4:5], s[74:75]
	s_cbranch_execnz .LBB25_236
.LBB25_273:
	s_or_b64 exec, exec, s[4:5]
	s_and_saveexec_b64 s[4:5], s[76:77]
	s_cbranch_execz .LBB25_237
.LBB25_274:
	v_lshlrev_b32_e32 v6, 3, v24
	ds_read_b64 v[6:7], v6
	ds_read_u8 v13, v2 offset:5888
	s_waitcnt lgkmcnt(1)
	v_lshl_add_u64 v[6:7], s[98:99], 0, v[6:7]
	v_lshl_add_u64 v[6:7], v[6:7], 0, v[2:3]
	s_waitcnt lgkmcnt(0)
	global_store_byte v[6:7], v13, off offset:3840
	s_or_b64 exec, exec, s[4:5]
	s_and_saveexec_b64 s[4:5], s[78:79]
	s_cbranch_execnz .LBB25_238
.LBB25_275:
	s_or_b64 exec, exec, s[4:5]
	s_and_saveexec_b64 s[4:5], s[80:81]
	s_cbranch_execz .LBB25_239
.LBB25_276:
	v_lshlrev_b32_e32 v3, 3, v15
	ds_read_b64 v[6:7], v3
	ds_read_u8 v3, v2 offset:6400
	v_mov_b32_e32 v15, 0
	s_waitcnt lgkmcnt(1)
	v_lshl_add_u64 v[6:7], s[98:99], 0, v[6:7]
	v_lshl_add_u64 v[6:7], v[6:7], 0, v[14:15]
	s_waitcnt lgkmcnt(0)
	global_store_byte v[6:7], v3, off
	s_or_b64 exec, exec, s[4:5]
	s_and_saveexec_b64 s[4:5], s[82:83]
	s_cbranch_execnz .LBB25_240
.LBB25_277:
	s_or_b64 exec, exec, s[4:5]
	s_and_saveexec_b64 s[4:5], s[84:85]
	s_cbranch_execz .LBB25_241
.LBB25_278:
	v_lshlrev_b32_e32 v3, 3, v5
	ds_read_b64 v[6:7], v3
	ds_read_u8 v3, v2 offset:6912
	v_mov_b32_e32 v19, 0
	s_waitcnt lgkmcnt(1)
	v_lshl_add_u64 v[6:7], s[98:99], 0, v[6:7]
	v_lshl_add_u64 v[6:7], v[6:7], 0, v[18:19]
	s_waitcnt lgkmcnt(0)
	global_store_byte v[6:7], v3, off
	s_or_b64 exec, exec, s[4:5]
	s_and_saveexec_b64 s[4:5], s[86:87]
	s_cbranch_execnz .LBB25_242
.LBB25_279:
	s_or_b64 exec, exec, s[4:5]
	s_and_saveexec_b64 s[4:5], s[88:89]
	s_cbranch_execz .LBB25_281
.LBB25_280:
	v_lshlrev_b32_e32 v3, 3, v4
	ds_read_b64 v[4:5], v3
	ds_read_u8 v3, v2 offset:7424
	v_mov_b32_e32 v23, 0
	s_waitcnt lgkmcnt(1)
	v_lshl_add_u64 v[4:5], s[98:99], 0, v[4:5]
	v_lshl_add_u64 v[4:5], v[4:5], 0, v[22:23]
	s_waitcnt lgkmcnt(0)
	global_store_byte v[4:5], v3, off
.LBB25_281:
	s_or_b64 exec, exec, s[4:5]
	s_load_dword s4, s[0:1], 0x50
	s_waitcnt lgkmcnt(0)
	s_add_i32 s4, s4, -1
	s_cmp_eq_u32 s2, s4
	s_cbranch_scc0 .LBB25_283
; %bb.282:
	ds_read_b64 v[4:5], v11
	s_load_dwordx4 s[12:15], s[0:1], 0x28
	v_mov_b32_e32 v11, 0
	v_lshl_add_u64 v[6:7], v[10:11], 0, v[8:9]
	v_lshlrev_b32_e32 v8, 3, v2
	s_waitcnt lgkmcnt(0)
	v_lshl_add_u64 v[2:3], v[6:7], 0, v[4:5]
	global_store_dwordx2 v8, v[2:3], s[14:15]
.LBB25_283:
	s_mov_b64 s[4:5], 0
.LBB25_284:
	s_and_b64 vcc, exec, s[4:5]
	s_cbranch_vccz .LBB25_347
; %bb.285:
	s_mov_b32 s7, 0
	s_lshl_b64 s[4:5], s[6:7], 2
	s_add_u32 s4, s92, s4
	v_mbcnt_hi_u32_b32 v4, -1, v1
	v_mov_b32_e32 v5, 0
	s_addc_u32 s5, s93, s5
	v_lshlrev_b32_e32 v2, 2, v4
	v_mov_b32_e32 v3, v5
	v_lshl_add_u64 v[2:3], s[4:5], 0, v[2:3]
	s_load_dword s7, s[0:1], 0x50
	s_load_dword s4, s[0:1], 0x5c
	v_and_b32_e32 v7, 0xc0, v0
	v_mul_u32_u24_e32 v6, 22, v7
	v_lshlrev_b32_e32 v8, 2, v6
	v_mov_b32_e32 v9, v5
	s_add_u32 s0, s0, 0x50
	v_lshl_add_u64 v[10:11], v[2:3], 0, v[8:9]
	s_addc_u32 s1, s1, 0
	s_waitcnt lgkmcnt(0)
	s_lshr_b32 s4, s4, 16
	global_load_dword v13, v[10:11], off
	s_cmp_lt_u32 s2, s7
	s_cselect_b32 s5, 12, 18
	s_add_u32 s0, s0, s5
	s_addc_u32 s1, s1, 0
	global_load_ushort v18, v5, s[0:1]
	v_and_b32_e32 v2, 0x3ff, v0
	v_mul_u32_u24_e32 v3, 20, v2
	ds_write2_b32 v3, v5, v5 offset0:4 offset1:5
	ds_write2_b32 v3, v5, v5 offset0:6 offset1:7
	ds_write_b32 v3, v5 offset:32
	global_load_dword v9, v[10:11], off offset:256
	global_load_dword v8, v[10:11], off offset:512
	;; [unrolled: 1-line block ×15, first 2 shown]
	s_movk_i32 s0, 0x1000
	v_add_co_u32_e32 v16, vcc, s0, v10
	v_bfe_u32 v15, v0, 10, 10
	s_nop 0
	v_addc_co_u32_e32 v17, vcc, 0, v11, vcc
	global_load_dword v45, v[16:17], off
	global_load_dword v41, v[16:17], off offset:256
	global_load_dword v36, v[16:17], off offset:512
	;; [unrolled: 1-line block ×5, first 2 shown]
	v_bfe_u32 v0, v0, 20, 10
	v_mad_u32_u24 v19, v0, s4, v15
	s_lshl_b32 s0, -1, s9
	v_mov_b32_e32 v1, v5
	v_mov_b32_e32 v12, v5
	;; [unrolled: 1-line block ×3, first 2 shown]
	s_not_b32 s9, s0
	s_waitcnt lgkmcnt(0)
	s_barrier
	s_waitcnt vmcnt(22)
	; wave barrier
	v_xor_b32_e32 v11, 0x80000000, v13
	v_lshrrev_b32_e32 v0, s8, v11
	v_bitop3_b32 v20, v0, s0, v0 bitop3:0x30
	v_and_b32_e32 v0, 1, v20
	v_lshlrev_b32_e32 v13, 30, v20
	v_lshlrev_b32_e32 v15, 29, v20
	s_waitcnt vmcnt(21)
	v_mad_u64_u32 v[16:17], s[0:1], v19, v18, v[2:3]
	v_lshl_add_u64 v[18:19], v[0:1], 0, -1
	v_cmp_ne_u32_e32 vcc, 0, v0
	v_not_b32_e32 v0, v13
	v_cmp_gt_i64_e64 s[0:1], 0, v[12:13]
	v_cmp_gt_i64_e64 s[4:5], 0, v[14:15]
	v_not_b32_e32 v1, v15
	v_xor_b32_e32 v13, vcc_hi, v19
	v_xor_b32_e32 v14, vcc_lo, v18
	v_ashrrev_i32_e32 v0, 31, v0
	v_ashrrev_i32_e32 v1, 31, v1
	v_and_b32_e32 v13, exec_hi, v13
	v_and_b32_e32 v14, exec_lo, v14
	v_xor_b32_e32 v15, s1, v0
	v_xor_b32_e32 v0, s0, v0
	v_and_b32_e32 v13, v13, v15
	v_and_b32_e32 v0, v14, v0
	v_xor_b32_e32 v14, s5, v1
	v_xor_b32_e32 v1, s4, v1
	v_and_b32_e32 v13, v13, v14
	v_and_b32_e32 v14, v0, v1
	v_lshlrev_b32_e32 v1, 28, v20
	v_mov_b32_e32 v0, v5
	v_cmp_gt_i64_e32 vcc, 0, v[0:1]
	v_not_b32_e32 v0, v1
	v_ashrrev_i32_e32 v0, 31, v0
	v_xor_b32_e32 v1, vcc_hi, v0
	v_xor_b32_e32 v0, vcc_lo, v0
	v_and_b32_e32 v13, v13, v1
	v_and_b32_e32 v14, v14, v0
	v_lshlrev_b32_e32 v1, 27, v20
	v_mov_b32_e32 v0, v5
	v_cmp_gt_i64_e32 vcc, 0, v[0:1]
	v_not_b32_e32 v0, v1
	v_ashrrev_i32_e32 v0, 31, v0
	v_xor_b32_e32 v1, vcc_hi, v0
	v_xor_b32_e32 v0, vcc_lo, v0
	;; [unrolled: 9-line block ×5, first 2 shown]
	v_and_b32_e32 v0, v14, v0
	v_and_b32_e32 v1, v13, v1
	v_mbcnt_lo_u32_b32 v13, v0, 0
	v_mbcnt_hi_u32_b32 v14, v1, v13
	v_mul_lo_u32 v23, v20, 20
	v_lshrrev_b32_e32 v21, 6, v16
	v_cmp_eq_u32_e32 vcc, 0, v14
	v_cmp_ne_u64_e64 s[0:1], 0, v[0:1]
	v_lshl_add_u32 v12, v21, 2, v23
	s_and_b64 s[4:5], s[0:1], vcc
	s_and_saveexec_b64 s[0:1], s[4:5]
; %bb.286:
	v_bcnt_u32_b32 v0, v0, 0
	v_bcnt_u32_b32 v0, v1, v0
	ds_write_b32 v12, v0 offset:16
; %bb.287:
	s_or_b64 exec, exec, s[0:1]
	s_waitcnt vmcnt(20)
	v_xor_b32_e32 v13, 0x80000000, v9
	v_lshrrev_b32_e32 v0, s8, v13
	v_and_b32_e32 v9, s9, v0
	v_mul_lo_u32 v0, v9, 20
	v_lshl_add_u32 v16, v21, 2, v0
	v_and_b32_e32 v0, 1, v9
	v_mov_b32_e32 v1, v5
	v_lshl_add_u64 v[18:19], v[0:1], 0, -1
	v_cmp_ne_u32_e32 vcc, 0, v0
	; wave barrier
	s_nop 1
	v_xor_b32_e32 v0, vcc_hi, v19
	v_xor_b32_e32 v1, vcc_lo, v18
	v_and_b32_e32 v17, exec_hi, v0
	v_and_b32_e32 v18, exec_lo, v1
	v_lshlrev_b32_e32 v1, 30, v9
	v_mov_b32_e32 v0, v5
	v_cmp_gt_i64_e32 vcc, 0, v[0:1]
	v_not_b32_e32 v0, v1
	v_ashrrev_i32_e32 v0, 31, v0
	v_xor_b32_e32 v1, vcc_hi, v0
	v_xor_b32_e32 v0, vcc_lo, v0
	v_and_b32_e32 v17, v17, v1
	v_and_b32_e32 v18, v18, v0
	v_lshlrev_b32_e32 v1, 29, v9
	v_mov_b32_e32 v0, v5
	v_cmp_gt_i64_e32 vcc, 0, v[0:1]
	v_not_b32_e32 v0, v1
	v_ashrrev_i32_e32 v0, 31, v0
	v_xor_b32_e32 v1, vcc_hi, v0
	v_xor_b32_e32 v0, vcc_lo, v0
	v_and_b32_e32 v17, v17, v1
	v_and_b32_e32 v18, v18, v0
	v_lshlrev_b32_e32 v1, 28, v9
	v_mov_b32_e32 v0, v5
	v_cmp_gt_i64_e32 vcc, 0, v[0:1]
	v_not_b32_e32 v0, v1
	v_ashrrev_i32_e32 v0, 31, v0
	v_xor_b32_e32 v1, vcc_hi, v0
	v_xor_b32_e32 v0, vcc_lo, v0
	v_and_b32_e32 v17, v17, v1
	v_and_b32_e32 v18, v18, v0
	v_lshlrev_b32_e32 v1, 27, v9
	v_mov_b32_e32 v0, v5
	v_cmp_gt_i64_e32 vcc, 0, v[0:1]
	v_not_b32_e32 v0, v1
	v_ashrrev_i32_e32 v0, 31, v0
	v_xor_b32_e32 v1, vcc_hi, v0
	v_xor_b32_e32 v0, vcc_lo, v0
	v_and_b32_e32 v17, v17, v1
	v_and_b32_e32 v18, v18, v0
	v_lshlrev_b32_e32 v1, 26, v9
	v_mov_b32_e32 v0, v5
	v_cmp_gt_i64_e32 vcc, 0, v[0:1]
	v_not_b32_e32 v0, v1
	v_ashrrev_i32_e32 v0, 31, v0
	v_xor_b32_e32 v1, vcc_hi, v0
	v_xor_b32_e32 v0, vcc_lo, v0
	v_and_b32_e32 v17, v17, v1
	v_and_b32_e32 v18, v18, v0
	v_lshlrev_b32_e32 v1, 25, v9
	v_mov_b32_e32 v0, v5
	v_cmp_gt_i64_e32 vcc, 0, v[0:1]
	v_not_b32_e32 v0, v1
	v_ashrrev_i32_e32 v0, 31, v0
	v_xor_b32_e32 v1, vcc_hi, v0
	v_xor_b32_e32 v0, vcc_lo, v0
	v_and_b32_e32 v17, v17, v1
	v_and_b32_e32 v18, v18, v0
	v_lshlrev_b32_e32 v1, 24, v9
	v_mov_b32_e32 v0, v5
	v_cmp_gt_i64_e32 vcc, 0, v[0:1]
	v_not_b32_e32 v0, v1
	v_ashrrev_i32_e32 v0, 31, v0
	v_xor_b32_e32 v1, vcc_hi, v0
	v_xor_b32_e32 v0, vcc_lo, v0
	ds_read_b32 v15, v16 offset:16
	v_and_b32_e32 v0, v18, v0
	v_and_b32_e32 v1, v17, v1
	v_mbcnt_lo_u32_b32 v9, v0, 0
	v_mbcnt_hi_u32_b32 v18, v1, v9
	v_cmp_eq_u32_e32 vcc, 0, v18
	v_cmp_ne_u64_e64 s[0:1], 0, v[0:1]
	s_and_b64 s[4:5], s[0:1], vcc
	; wave barrier
	s_and_saveexec_b64 s[0:1], s[4:5]
	s_cbranch_execz .LBB25_289
; %bb.288:
	v_bcnt_u32_b32 v0, v0, 0
	v_bcnt_u32_b32 v0, v1, v0
	s_waitcnt lgkmcnt(0)
	v_add_u32_e32 v0, v15, v0
	ds_write_b32 v16, v0 offset:16
.LBB25_289:
	s_or_b64 exec, exec, s[0:1]
	s_waitcnt vmcnt(19)
	v_xor_b32_e32 v17, 0x80000000, v8
	v_lshrrev_b32_e32 v0, s8, v17
	v_and_b32_e32 v23, s9, v0
	v_mul_lo_u32 v0, v23, 20
	v_lshl_add_u32 v20, v21, 2, v0
	v_and_b32_e32 v0, 1, v23
	v_mov_b32_e32 v1, 0
	v_lshl_add_u64 v[8:9], v[0:1], 0, -1
	v_cmp_ne_u32_e32 vcc, 0, v0
	; wave barrier
	s_nop 1
	v_xor_b32_e32 v8, vcc_lo, v8
	v_xor_b32_e32 v0, vcc_hi, v9
	v_and_b32_e32 v24, exec_lo, v8
	v_lshlrev_b32_e32 v9, 30, v23
	v_mov_b32_e32 v8, v1
	v_cmp_gt_i64_e32 vcc, 0, v[8:9]
	v_not_b32_e32 v8, v9
	v_ashrrev_i32_e32 v8, 31, v8
	v_and_b32_e32 v0, exec_hi, v0
	v_xor_b32_e32 v9, vcc_hi, v8
	v_xor_b32_e32 v8, vcc_lo, v8
	v_and_b32_e32 v0, v0, v9
	v_and_b32_e32 v24, v24, v8
	v_lshlrev_b32_e32 v9, 29, v23
	v_mov_b32_e32 v8, v1
	v_cmp_gt_i64_e32 vcc, 0, v[8:9]
	v_not_b32_e32 v8, v9
	v_ashrrev_i32_e32 v8, 31, v8
	v_xor_b32_e32 v9, vcc_hi, v8
	v_xor_b32_e32 v8, vcc_lo, v8
	v_and_b32_e32 v0, v0, v9
	v_and_b32_e32 v24, v24, v8
	v_lshlrev_b32_e32 v9, 28, v23
	v_mov_b32_e32 v8, v1
	v_cmp_gt_i64_e32 vcc, 0, v[8:9]
	v_not_b32_e32 v8, v9
	v_ashrrev_i32_e32 v8, 31, v8
	;; [unrolled: 9-line block ×6, first 2 shown]
	v_xor_b32_e32 v9, vcc_hi, v8
	v_xor_b32_e32 v8, vcc_lo, v8
	ds_read_b32 v19, v20 offset:16
	v_and_b32_e32 v8, v24, v8
	v_and_b32_e32 v9, v0, v9
	v_mbcnt_lo_u32_b32 v0, v8, 0
	v_mbcnt_hi_u32_b32 v23, v9, v0
	v_cmp_eq_u32_e32 vcc, 0, v23
	v_cmp_ne_u64_e64 s[0:1], 0, v[8:9]
	s_and_b64 s[4:5], s[0:1], vcc
	; wave barrier
	s_and_saveexec_b64 s[0:1], s[4:5]
	s_cbranch_execz .LBB25_291
; %bb.290:
	v_bcnt_u32_b32 v0, v8, 0
	v_bcnt_u32_b32 v0, v9, v0
	s_waitcnt lgkmcnt(0)
	v_add_u32_e32 v0, v19, v0
	ds_write_b32 v20, v0 offset:16
.LBB25_291:
	s_or_b64 exec, exec, s[0:1]
	s_waitcnt vmcnt(18)
	v_xor_b32_e32 v22, 0x80000000, v22
	v_lshrrev_b32_e32 v0, s8, v22
	v_and_b32_e32 v28, s9, v0
	v_mul_lo_u32 v0, v28, 20
	v_lshl_add_u32 v25, v21, 2, v0
	v_and_b32_e32 v0, 1, v28
	v_lshl_add_u64 v[8:9], v[0:1], 0, -1
	v_cmp_ne_u32_e32 vcc, 0, v0
	; wave barrier
	s_nop 1
	v_xor_b32_e32 v8, vcc_lo, v8
	v_xor_b32_e32 v0, vcc_hi, v9
	v_and_b32_e32 v29, exec_lo, v8
	v_lshlrev_b32_e32 v9, 30, v28
	v_mov_b32_e32 v8, v1
	v_cmp_gt_i64_e32 vcc, 0, v[8:9]
	v_not_b32_e32 v8, v9
	v_ashrrev_i32_e32 v8, 31, v8
	v_and_b32_e32 v0, exec_hi, v0
	v_xor_b32_e32 v9, vcc_hi, v8
	v_xor_b32_e32 v8, vcc_lo, v8
	v_and_b32_e32 v0, v0, v9
	v_and_b32_e32 v29, v29, v8
	v_lshlrev_b32_e32 v9, 29, v28
	v_mov_b32_e32 v8, v1
	v_cmp_gt_i64_e32 vcc, 0, v[8:9]
	v_not_b32_e32 v8, v9
	v_ashrrev_i32_e32 v8, 31, v8
	v_xor_b32_e32 v9, vcc_hi, v8
	v_xor_b32_e32 v8, vcc_lo, v8
	v_and_b32_e32 v0, v0, v9
	v_and_b32_e32 v29, v29, v8
	v_lshlrev_b32_e32 v9, 28, v28
	v_mov_b32_e32 v8, v1
	v_cmp_gt_i64_e32 vcc, 0, v[8:9]
	v_not_b32_e32 v8, v9
	v_ashrrev_i32_e32 v8, 31, v8
	;; [unrolled: 9-line block ×5, first 2 shown]
	v_xor_b32_e32 v9, vcc_hi, v8
	v_xor_b32_e32 v8, vcc_lo, v8
	v_and_b32_e32 v0, v0, v9
	v_lshlrev_b32_e32 v9, 24, v28
	v_and_b32_e32 v29, v29, v8
	v_mov_b32_e32 v8, v1
	v_not_b32_e32 v1, v9
	v_cmp_gt_i64_e32 vcc, 0, v[8:9]
	v_ashrrev_i32_e32 v1, 31, v1
	ds_read_b32 v24, v25 offset:16
	v_xor_b32_e32 v8, vcc_hi, v1
	v_xor_b32_e32 v9, vcc_lo, v1
	v_and_b32_e32 v1, v0, v8
	v_and_b32_e32 v0, v29, v9
	v_mbcnt_lo_u32_b32 v8, v0, 0
	v_mbcnt_hi_u32_b32 v28, v1, v8
	v_cmp_eq_u32_e32 vcc, 0, v28
	v_cmp_ne_u64_e64 s[0:1], 0, v[0:1]
	s_and_b64 s[4:5], s[0:1], vcc
	; wave barrier
	s_and_saveexec_b64 s[0:1], s[4:5]
	s_cbranch_execz .LBB25_293
; %bb.292:
	v_bcnt_u32_b32 v0, v0, 0
	v_bcnt_u32_b32 v0, v1, v0
	s_waitcnt lgkmcnt(0)
	v_add_u32_e32 v0, v24, v0
	ds_write_b32 v25, v0 offset:16
.LBB25_293:
	s_or_b64 exec, exec, s[0:1]
	s_waitcnt vmcnt(17)
	v_xor_b32_e32 v27, 0x80000000, v27
	v_lshrrev_b32_e32 v0, s8, v27
	v_and_b32_e32 v33, s9, v0
	v_mul_lo_u32 v0, v33, 20
	v_lshl_add_u32 v30, v21, 2, v0
	v_and_b32_e32 v0, 1, v33
	v_mov_b32_e32 v1, 0
	v_lshl_add_u64 v[8:9], v[0:1], 0, -1
	v_cmp_ne_u32_e32 vcc, 0, v0
	; wave barrier
	s_nop 1
	v_xor_b32_e32 v8, vcc_lo, v8
	v_xor_b32_e32 v0, vcc_hi, v9
	v_and_b32_e32 v34, exec_lo, v8
	v_lshlrev_b32_e32 v9, 30, v33
	v_mov_b32_e32 v8, v1
	v_cmp_gt_i64_e32 vcc, 0, v[8:9]
	v_not_b32_e32 v8, v9
	v_ashrrev_i32_e32 v8, 31, v8
	v_and_b32_e32 v0, exec_hi, v0
	v_xor_b32_e32 v9, vcc_hi, v8
	v_xor_b32_e32 v8, vcc_lo, v8
	v_and_b32_e32 v0, v0, v9
	v_and_b32_e32 v34, v34, v8
	v_lshlrev_b32_e32 v9, 29, v33
	v_mov_b32_e32 v8, v1
	v_cmp_gt_i64_e32 vcc, 0, v[8:9]
	v_not_b32_e32 v8, v9
	v_ashrrev_i32_e32 v8, 31, v8
	v_xor_b32_e32 v9, vcc_hi, v8
	v_xor_b32_e32 v8, vcc_lo, v8
	v_and_b32_e32 v0, v0, v9
	v_and_b32_e32 v34, v34, v8
	v_lshlrev_b32_e32 v9, 28, v33
	v_mov_b32_e32 v8, v1
	v_cmp_gt_i64_e32 vcc, 0, v[8:9]
	v_not_b32_e32 v8, v9
	v_ashrrev_i32_e32 v8, 31, v8
	;; [unrolled: 9-line block ×6, first 2 shown]
	v_xor_b32_e32 v9, vcc_hi, v8
	v_xor_b32_e32 v8, vcc_lo, v8
	ds_read_b32 v29, v30 offset:16
	v_and_b32_e32 v8, v34, v8
	v_and_b32_e32 v9, v0, v9
	v_mbcnt_lo_u32_b32 v0, v8, 0
	v_mbcnt_hi_u32_b32 v33, v9, v0
	v_cmp_eq_u32_e32 vcc, 0, v33
	v_cmp_ne_u64_e64 s[0:1], 0, v[8:9]
	s_and_b64 s[4:5], s[0:1], vcc
	; wave barrier
	s_and_saveexec_b64 s[0:1], s[4:5]
	s_cbranch_execz .LBB25_295
; %bb.294:
	v_bcnt_u32_b32 v0, v8, 0
	v_bcnt_u32_b32 v0, v9, v0
	s_waitcnt lgkmcnt(0)
	v_add_u32_e32 v0, v29, v0
	ds_write_b32 v30, v0 offset:16
.LBB25_295:
	s_or_b64 exec, exec, s[0:1]
	s_waitcnt vmcnt(16)
	v_xor_b32_e32 v32, 0x80000000, v32
	v_lshrrev_b32_e32 v0, s8, v32
	v_and_b32_e32 v38, s9, v0
	v_mul_lo_u32 v0, v38, 20
	v_lshl_add_u32 v35, v21, 2, v0
	v_and_b32_e32 v0, 1, v38
	v_lshl_add_u64 v[8:9], v[0:1], 0, -1
	v_cmp_ne_u32_e32 vcc, 0, v0
	; wave barrier
	s_nop 1
	v_xor_b32_e32 v8, vcc_lo, v8
	v_xor_b32_e32 v0, vcc_hi, v9
	v_and_b32_e32 v39, exec_lo, v8
	v_lshlrev_b32_e32 v9, 30, v38
	v_mov_b32_e32 v8, v1
	v_cmp_gt_i64_e32 vcc, 0, v[8:9]
	v_not_b32_e32 v8, v9
	v_ashrrev_i32_e32 v8, 31, v8
	v_and_b32_e32 v0, exec_hi, v0
	v_xor_b32_e32 v9, vcc_hi, v8
	v_xor_b32_e32 v8, vcc_lo, v8
	v_and_b32_e32 v0, v0, v9
	v_and_b32_e32 v39, v39, v8
	v_lshlrev_b32_e32 v9, 29, v38
	v_mov_b32_e32 v8, v1
	v_cmp_gt_i64_e32 vcc, 0, v[8:9]
	v_not_b32_e32 v8, v9
	v_ashrrev_i32_e32 v8, 31, v8
	v_xor_b32_e32 v9, vcc_hi, v8
	v_xor_b32_e32 v8, vcc_lo, v8
	v_and_b32_e32 v0, v0, v9
	v_and_b32_e32 v39, v39, v8
	v_lshlrev_b32_e32 v9, 28, v38
	v_mov_b32_e32 v8, v1
	v_cmp_gt_i64_e32 vcc, 0, v[8:9]
	v_not_b32_e32 v8, v9
	v_ashrrev_i32_e32 v8, 31, v8
	v_xor_b32_e32 v9, vcc_hi, v8
	v_xor_b32_e32 v8, vcc_lo, v8
	v_and_b32_e32 v0, v0, v9
	v_and_b32_e32 v39, v39, v8
	v_lshlrev_b32_e32 v9, 27, v38
	v_mov_b32_e32 v8, v1
	v_cmp_gt_i64_e32 vcc, 0, v[8:9]
	v_not_b32_e32 v8, v9
	v_ashrrev_i32_e32 v8, 31, v8
	v_xor_b32_e32 v9, vcc_hi, v8
	v_xor_b32_e32 v8, vcc_lo, v8
	v_and_b32_e32 v0, v0, v9
	v_and_b32_e32 v39, v39, v8
	v_lshlrev_b32_e32 v9, 26, v38
	v_mov_b32_e32 v8, v1
	v_cmp_gt_i64_e32 vcc, 0, v[8:9]
	v_not_b32_e32 v8, v9
	v_ashrrev_i32_e32 v8, 31, v8
	v_xor_b32_e32 v9, vcc_hi, v8
	v_xor_b32_e32 v8, vcc_lo, v8
	v_and_b32_e32 v0, v0, v9
	v_and_b32_e32 v39, v39, v8
	v_lshlrev_b32_e32 v9, 25, v38
	v_mov_b32_e32 v8, v1
	v_cmp_gt_i64_e32 vcc, 0, v[8:9]
	v_not_b32_e32 v8, v9
	v_ashrrev_i32_e32 v8, 31, v8
	v_xor_b32_e32 v9, vcc_hi, v8
	v_xor_b32_e32 v8, vcc_lo, v8
	v_and_b32_e32 v0, v0, v9
	v_lshlrev_b32_e32 v9, 24, v38
	v_and_b32_e32 v39, v39, v8
	v_mov_b32_e32 v8, v1
	v_not_b32_e32 v1, v9
	v_cmp_gt_i64_e32 vcc, 0, v[8:9]
	v_ashrrev_i32_e32 v1, 31, v1
	ds_read_b32 v34, v35 offset:16
	v_xor_b32_e32 v8, vcc_hi, v1
	v_xor_b32_e32 v9, vcc_lo, v1
	v_and_b32_e32 v1, v0, v8
	v_and_b32_e32 v0, v39, v9
	v_mbcnt_lo_u32_b32 v8, v0, 0
	v_mbcnt_hi_u32_b32 v38, v1, v8
	v_cmp_eq_u32_e32 vcc, 0, v38
	v_cmp_ne_u64_e64 s[0:1], 0, v[0:1]
	s_and_b64 s[4:5], s[0:1], vcc
	; wave barrier
	s_and_saveexec_b64 s[0:1], s[4:5]
	s_cbranch_execz .LBB25_297
; %bb.296:
	v_bcnt_u32_b32 v0, v0, 0
	v_bcnt_u32_b32 v0, v1, v0
	s_waitcnt lgkmcnt(0)
	v_add_u32_e32 v0, v34, v0
	ds_write_b32 v35, v0 offset:16
.LBB25_297:
	s_or_b64 exec, exec, s[0:1]
	s_waitcnt vmcnt(15)
	v_xor_b32_e32 v37, 0x80000000, v37
	v_lshrrev_b32_e32 v0, s8, v37
	v_and_b32_e32 v43, s9, v0
	v_mul_lo_u32 v0, v43, 20
	v_lshl_add_u32 v40, v21, 2, v0
	v_and_b32_e32 v0, 1, v43
	v_mov_b32_e32 v1, 0
	v_lshl_add_u64 v[8:9], v[0:1], 0, -1
	v_cmp_ne_u32_e32 vcc, 0, v0
	; wave barrier
	s_nop 1
	v_xor_b32_e32 v8, vcc_lo, v8
	v_xor_b32_e32 v0, vcc_hi, v9
	v_and_b32_e32 v44, exec_lo, v8
	v_lshlrev_b32_e32 v9, 30, v43
	v_mov_b32_e32 v8, v1
	v_cmp_gt_i64_e32 vcc, 0, v[8:9]
	v_not_b32_e32 v8, v9
	v_ashrrev_i32_e32 v8, 31, v8
	v_and_b32_e32 v0, exec_hi, v0
	v_xor_b32_e32 v9, vcc_hi, v8
	v_xor_b32_e32 v8, vcc_lo, v8
	v_and_b32_e32 v0, v0, v9
	v_and_b32_e32 v44, v44, v8
	v_lshlrev_b32_e32 v9, 29, v43
	v_mov_b32_e32 v8, v1
	v_cmp_gt_i64_e32 vcc, 0, v[8:9]
	v_not_b32_e32 v8, v9
	v_ashrrev_i32_e32 v8, 31, v8
	v_xor_b32_e32 v9, vcc_hi, v8
	v_xor_b32_e32 v8, vcc_lo, v8
	v_and_b32_e32 v0, v0, v9
	v_and_b32_e32 v44, v44, v8
	v_lshlrev_b32_e32 v9, 28, v43
	v_mov_b32_e32 v8, v1
	v_cmp_gt_i64_e32 vcc, 0, v[8:9]
	v_not_b32_e32 v8, v9
	v_ashrrev_i32_e32 v8, 31, v8
	;; [unrolled: 9-line block ×6, first 2 shown]
	v_xor_b32_e32 v9, vcc_hi, v8
	v_xor_b32_e32 v8, vcc_lo, v8
	ds_read_b32 v39, v40 offset:16
	v_and_b32_e32 v8, v44, v8
	v_and_b32_e32 v9, v0, v9
	v_mbcnt_lo_u32_b32 v0, v8, 0
	v_mbcnt_hi_u32_b32 v43, v9, v0
	v_cmp_eq_u32_e32 vcc, 0, v43
	v_cmp_ne_u64_e64 s[0:1], 0, v[8:9]
	s_and_b64 s[4:5], s[0:1], vcc
	; wave barrier
	s_and_saveexec_b64 s[0:1], s[4:5]
	s_cbranch_execz .LBB25_299
; %bb.298:
	v_bcnt_u32_b32 v0, v8, 0
	v_bcnt_u32_b32 v0, v9, v0
	s_waitcnt lgkmcnt(0)
	v_add_u32_e32 v0, v39, v0
	ds_write_b32 v40, v0 offset:16
.LBB25_299:
	s_or_b64 exec, exec, s[0:1]
	s_waitcnt vmcnt(14)
	v_xor_b32_e32 v42, 0x80000000, v42
	v_lshrrev_b32_e32 v0, s8, v42
	v_and_b32_e32 v48, s9, v0
	v_mul_lo_u32 v0, v48, 20
	v_lshl_add_u32 v46, v21, 2, v0
	v_and_b32_e32 v0, 1, v48
	v_lshl_add_u64 v[8:9], v[0:1], 0, -1
	v_cmp_ne_u32_e32 vcc, 0, v0
	; wave barrier
	s_nop 1
	v_xor_b32_e32 v8, vcc_lo, v8
	v_xor_b32_e32 v0, vcc_hi, v9
	v_and_b32_e32 v49, exec_lo, v8
	v_lshlrev_b32_e32 v9, 30, v48
	v_mov_b32_e32 v8, v1
	v_cmp_gt_i64_e32 vcc, 0, v[8:9]
	v_not_b32_e32 v8, v9
	v_ashrrev_i32_e32 v8, 31, v8
	v_and_b32_e32 v0, exec_hi, v0
	v_xor_b32_e32 v9, vcc_hi, v8
	v_xor_b32_e32 v8, vcc_lo, v8
	v_and_b32_e32 v0, v0, v9
	v_and_b32_e32 v49, v49, v8
	v_lshlrev_b32_e32 v9, 29, v48
	v_mov_b32_e32 v8, v1
	v_cmp_gt_i64_e32 vcc, 0, v[8:9]
	v_not_b32_e32 v8, v9
	v_ashrrev_i32_e32 v8, 31, v8
	v_xor_b32_e32 v9, vcc_hi, v8
	v_xor_b32_e32 v8, vcc_lo, v8
	v_and_b32_e32 v0, v0, v9
	v_and_b32_e32 v49, v49, v8
	v_lshlrev_b32_e32 v9, 28, v48
	v_mov_b32_e32 v8, v1
	v_cmp_gt_i64_e32 vcc, 0, v[8:9]
	v_not_b32_e32 v8, v9
	v_ashrrev_i32_e32 v8, 31, v8
	;; [unrolled: 9-line block ×5, first 2 shown]
	v_xor_b32_e32 v9, vcc_hi, v8
	v_xor_b32_e32 v8, vcc_lo, v8
	v_and_b32_e32 v0, v0, v9
	v_lshlrev_b32_e32 v9, 24, v48
	v_and_b32_e32 v49, v49, v8
	v_mov_b32_e32 v8, v1
	v_not_b32_e32 v1, v9
	v_cmp_gt_i64_e32 vcc, 0, v[8:9]
	v_ashrrev_i32_e32 v1, 31, v1
	ds_read_b32 v44, v46 offset:16
	v_xor_b32_e32 v8, vcc_hi, v1
	v_xor_b32_e32 v9, vcc_lo, v1
	v_and_b32_e32 v1, v0, v8
	v_and_b32_e32 v0, v49, v9
	v_mbcnt_lo_u32_b32 v8, v0, 0
	v_mbcnt_hi_u32_b32 v48, v1, v8
	v_cmp_eq_u32_e32 vcc, 0, v48
	v_cmp_ne_u64_e64 s[0:1], 0, v[0:1]
	s_and_b64 s[4:5], s[0:1], vcc
	; wave barrier
	s_and_saveexec_b64 s[0:1], s[4:5]
	s_cbranch_execz .LBB25_301
; %bb.300:
	v_bcnt_u32_b32 v0, v0, 0
	v_bcnt_u32_b32 v0, v1, v0
	s_waitcnt lgkmcnt(0)
	v_add_u32_e32 v0, v44, v0
	ds_write_b32 v46, v0 offset:16
.LBB25_301:
	s_or_b64 exec, exec, s[0:1]
	s_waitcnt vmcnt(13)
	v_xor_b32_e32 v47, 0x80000000, v47
	v_lshrrev_b32_e32 v0, s8, v47
	v_and_b32_e32 v53, s9, v0
	v_mul_lo_u32 v0, v53, 20
	v_lshl_add_u32 v51, v21, 2, v0
	v_and_b32_e32 v0, 1, v53
	v_mov_b32_e32 v1, 0
	v_lshl_add_u64 v[8:9], v[0:1], 0, -1
	v_cmp_ne_u32_e32 vcc, 0, v0
	; wave barrier
	s_nop 1
	v_xor_b32_e32 v8, vcc_lo, v8
	v_xor_b32_e32 v0, vcc_hi, v9
	v_and_b32_e32 v54, exec_lo, v8
	v_lshlrev_b32_e32 v9, 30, v53
	v_mov_b32_e32 v8, v1
	v_cmp_gt_i64_e32 vcc, 0, v[8:9]
	v_not_b32_e32 v8, v9
	v_ashrrev_i32_e32 v8, 31, v8
	v_and_b32_e32 v0, exec_hi, v0
	v_xor_b32_e32 v9, vcc_hi, v8
	v_xor_b32_e32 v8, vcc_lo, v8
	v_and_b32_e32 v0, v0, v9
	v_and_b32_e32 v54, v54, v8
	v_lshlrev_b32_e32 v9, 29, v53
	v_mov_b32_e32 v8, v1
	v_cmp_gt_i64_e32 vcc, 0, v[8:9]
	v_not_b32_e32 v8, v9
	v_ashrrev_i32_e32 v8, 31, v8
	v_xor_b32_e32 v9, vcc_hi, v8
	v_xor_b32_e32 v8, vcc_lo, v8
	v_and_b32_e32 v0, v0, v9
	v_and_b32_e32 v54, v54, v8
	v_lshlrev_b32_e32 v9, 28, v53
	v_mov_b32_e32 v8, v1
	v_cmp_gt_i64_e32 vcc, 0, v[8:9]
	v_not_b32_e32 v8, v9
	v_ashrrev_i32_e32 v8, 31, v8
	;; [unrolled: 9-line block ×6, first 2 shown]
	v_xor_b32_e32 v9, vcc_hi, v8
	v_xor_b32_e32 v8, vcc_lo, v8
	ds_read_b32 v49, v51 offset:16
	v_and_b32_e32 v8, v54, v8
	v_and_b32_e32 v9, v0, v9
	v_mbcnt_lo_u32_b32 v0, v8, 0
	v_mbcnt_hi_u32_b32 v53, v9, v0
	v_cmp_eq_u32_e32 vcc, 0, v53
	v_cmp_ne_u64_e64 s[0:1], 0, v[8:9]
	s_and_b64 s[4:5], s[0:1], vcc
	; wave barrier
	s_and_saveexec_b64 s[0:1], s[4:5]
	s_cbranch_execz .LBB25_303
; %bb.302:
	v_bcnt_u32_b32 v0, v8, 0
	v_bcnt_u32_b32 v0, v9, v0
	s_waitcnt lgkmcnt(0)
	v_add_u32_e32 v0, v49, v0
	ds_write_b32 v51, v0 offset:16
.LBB25_303:
	s_or_b64 exec, exec, s[0:1]
	s_waitcnt vmcnt(12)
	v_xor_b32_e32 v52, 0x80000000, v52
	v_lshrrev_b32_e32 v0, s8, v52
	v_and_b32_e32 v58, s9, v0
	v_mul_lo_u32 v0, v58, 20
	v_lshl_add_u32 v56, v21, 2, v0
	v_and_b32_e32 v0, 1, v58
	v_lshl_add_u64 v[8:9], v[0:1], 0, -1
	v_cmp_ne_u32_e32 vcc, 0, v0
	; wave barrier
	s_nop 1
	v_xor_b32_e32 v8, vcc_lo, v8
	v_xor_b32_e32 v0, vcc_hi, v9
	v_and_b32_e32 v59, exec_lo, v8
	v_lshlrev_b32_e32 v9, 30, v58
	v_mov_b32_e32 v8, v1
	v_cmp_gt_i64_e32 vcc, 0, v[8:9]
	v_not_b32_e32 v8, v9
	v_ashrrev_i32_e32 v8, 31, v8
	v_and_b32_e32 v0, exec_hi, v0
	v_xor_b32_e32 v9, vcc_hi, v8
	v_xor_b32_e32 v8, vcc_lo, v8
	v_and_b32_e32 v0, v0, v9
	v_and_b32_e32 v59, v59, v8
	v_lshlrev_b32_e32 v9, 29, v58
	v_mov_b32_e32 v8, v1
	v_cmp_gt_i64_e32 vcc, 0, v[8:9]
	v_not_b32_e32 v8, v9
	v_ashrrev_i32_e32 v8, 31, v8
	v_xor_b32_e32 v9, vcc_hi, v8
	v_xor_b32_e32 v8, vcc_lo, v8
	v_and_b32_e32 v0, v0, v9
	v_and_b32_e32 v59, v59, v8
	v_lshlrev_b32_e32 v9, 28, v58
	v_mov_b32_e32 v8, v1
	v_cmp_gt_i64_e32 vcc, 0, v[8:9]
	v_not_b32_e32 v8, v9
	v_ashrrev_i32_e32 v8, 31, v8
	v_xor_b32_e32 v9, vcc_hi, v8
	v_xor_b32_e32 v8, vcc_lo, v8
	v_and_b32_e32 v0, v0, v9
	v_and_b32_e32 v59, v59, v8
	v_lshlrev_b32_e32 v9, 27, v58
	v_mov_b32_e32 v8, v1
	v_cmp_gt_i64_e32 vcc, 0, v[8:9]
	v_not_b32_e32 v8, v9
	v_ashrrev_i32_e32 v8, 31, v8
	v_xor_b32_e32 v9, vcc_hi, v8
	v_xor_b32_e32 v8, vcc_lo, v8
	v_and_b32_e32 v0, v0, v9
	v_and_b32_e32 v59, v59, v8
	v_lshlrev_b32_e32 v9, 26, v58
	v_mov_b32_e32 v8, v1
	v_cmp_gt_i64_e32 vcc, 0, v[8:9]
	v_not_b32_e32 v8, v9
	v_ashrrev_i32_e32 v8, 31, v8
	v_xor_b32_e32 v9, vcc_hi, v8
	v_xor_b32_e32 v8, vcc_lo, v8
	v_and_b32_e32 v0, v0, v9
	v_and_b32_e32 v59, v59, v8
	v_lshlrev_b32_e32 v9, 25, v58
	v_mov_b32_e32 v8, v1
	v_cmp_gt_i64_e32 vcc, 0, v[8:9]
	v_not_b32_e32 v8, v9
	v_ashrrev_i32_e32 v8, 31, v8
	v_xor_b32_e32 v9, vcc_hi, v8
	v_xor_b32_e32 v8, vcc_lo, v8
	v_and_b32_e32 v0, v0, v9
	v_lshlrev_b32_e32 v9, 24, v58
	v_and_b32_e32 v59, v59, v8
	v_mov_b32_e32 v8, v1
	v_not_b32_e32 v1, v9
	v_cmp_gt_i64_e32 vcc, 0, v[8:9]
	v_ashrrev_i32_e32 v1, 31, v1
	ds_read_b32 v54, v56 offset:16
	v_xor_b32_e32 v8, vcc_hi, v1
	v_xor_b32_e32 v9, vcc_lo, v1
	v_and_b32_e32 v1, v0, v8
	v_and_b32_e32 v0, v59, v9
	v_mbcnt_lo_u32_b32 v8, v0, 0
	v_mbcnt_hi_u32_b32 v58, v1, v8
	v_cmp_eq_u32_e32 vcc, 0, v58
	v_cmp_ne_u64_e64 s[0:1], 0, v[0:1]
	s_and_b64 s[4:5], s[0:1], vcc
	; wave barrier
	s_and_saveexec_b64 s[0:1], s[4:5]
	s_cbranch_execz .LBB25_305
; %bb.304:
	v_bcnt_u32_b32 v0, v0, 0
	v_bcnt_u32_b32 v0, v1, v0
	s_waitcnt lgkmcnt(0)
	v_add_u32_e32 v0, v54, v0
	ds_write_b32 v56, v0 offset:16
.LBB25_305:
	s_or_b64 exec, exec, s[0:1]
	s_waitcnt vmcnt(11)
	v_xor_b32_e32 v57, 0x80000000, v57
	v_lshrrev_b32_e32 v0, s8, v57
	v_and_b32_e32 v63, s9, v0
	v_mul_lo_u32 v0, v63, 20
	v_lshl_add_u32 v61, v21, 2, v0
	v_and_b32_e32 v0, 1, v63
	v_mov_b32_e32 v1, 0
	v_lshl_add_u64 v[8:9], v[0:1], 0, -1
	v_cmp_ne_u32_e32 vcc, 0, v0
	; wave barrier
	s_nop 1
	v_xor_b32_e32 v8, vcc_lo, v8
	v_xor_b32_e32 v0, vcc_hi, v9
	v_and_b32_e32 v64, exec_lo, v8
	v_lshlrev_b32_e32 v9, 30, v63
	v_mov_b32_e32 v8, v1
	v_cmp_gt_i64_e32 vcc, 0, v[8:9]
	v_not_b32_e32 v8, v9
	v_ashrrev_i32_e32 v8, 31, v8
	v_and_b32_e32 v0, exec_hi, v0
	v_xor_b32_e32 v9, vcc_hi, v8
	v_xor_b32_e32 v8, vcc_lo, v8
	v_and_b32_e32 v0, v0, v9
	v_and_b32_e32 v64, v64, v8
	v_lshlrev_b32_e32 v9, 29, v63
	v_mov_b32_e32 v8, v1
	v_cmp_gt_i64_e32 vcc, 0, v[8:9]
	v_not_b32_e32 v8, v9
	v_ashrrev_i32_e32 v8, 31, v8
	v_xor_b32_e32 v9, vcc_hi, v8
	v_xor_b32_e32 v8, vcc_lo, v8
	v_and_b32_e32 v0, v0, v9
	v_and_b32_e32 v64, v64, v8
	v_lshlrev_b32_e32 v9, 28, v63
	v_mov_b32_e32 v8, v1
	v_cmp_gt_i64_e32 vcc, 0, v[8:9]
	v_not_b32_e32 v8, v9
	v_ashrrev_i32_e32 v8, 31, v8
	;; [unrolled: 9-line block ×6, first 2 shown]
	v_xor_b32_e32 v9, vcc_hi, v8
	v_xor_b32_e32 v8, vcc_lo, v8
	ds_read_b32 v59, v61 offset:16
	v_and_b32_e32 v8, v64, v8
	v_and_b32_e32 v9, v0, v9
	v_mbcnt_lo_u32_b32 v0, v8, 0
	v_mbcnt_hi_u32_b32 v63, v9, v0
	v_cmp_eq_u32_e32 vcc, 0, v63
	v_cmp_ne_u64_e64 s[0:1], 0, v[8:9]
	s_and_b64 s[4:5], s[0:1], vcc
	; wave barrier
	s_and_saveexec_b64 s[0:1], s[4:5]
	s_cbranch_execz .LBB25_307
; %bb.306:
	v_bcnt_u32_b32 v0, v8, 0
	v_bcnt_u32_b32 v0, v9, v0
	s_waitcnt lgkmcnt(0)
	v_add_u32_e32 v0, v59, v0
	ds_write_b32 v61, v0 offset:16
.LBB25_307:
	s_or_b64 exec, exec, s[0:1]
	s_waitcnt vmcnt(10)
	v_xor_b32_e32 v62, 0x80000000, v62
	v_lshrrev_b32_e32 v0, s8, v62
	v_and_b32_e32 v67, s9, v0
	v_mul_lo_u32 v0, v67, 20
	v_lshl_add_u32 v66, v21, 2, v0
	v_and_b32_e32 v0, 1, v67
	v_lshl_add_u64 v[8:9], v[0:1], 0, -1
	v_cmp_ne_u32_e32 vcc, 0, v0
	; wave barrier
	s_nop 1
	v_xor_b32_e32 v8, vcc_lo, v8
	v_xor_b32_e32 v0, vcc_hi, v9
	v_and_b32_e32 v68, exec_lo, v8
	v_lshlrev_b32_e32 v9, 30, v67
	v_mov_b32_e32 v8, v1
	v_cmp_gt_i64_e32 vcc, 0, v[8:9]
	v_not_b32_e32 v8, v9
	v_ashrrev_i32_e32 v8, 31, v8
	v_and_b32_e32 v0, exec_hi, v0
	v_xor_b32_e32 v9, vcc_hi, v8
	v_xor_b32_e32 v8, vcc_lo, v8
	v_and_b32_e32 v0, v0, v9
	v_and_b32_e32 v68, v68, v8
	v_lshlrev_b32_e32 v9, 29, v67
	v_mov_b32_e32 v8, v1
	v_cmp_gt_i64_e32 vcc, 0, v[8:9]
	v_not_b32_e32 v8, v9
	v_ashrrev_i32_e32 v8, 31, v8
	v_xor_b32_e32 v9, vcc_hi, v8
	v_xor_b32_e32 v8, vcc_lo, v8
	v_and_b32_e32 v0, v0, v9
	v_and_b32_e32 v68, v68, v8
	v_lshlrev_b32_e32 v9, 28, v67
	v_mov_b32_e32 v8, v1
	v_cmp_gt_i64_e32 vcc, 0, v[8:9]
	v_not_b32_e32 v8, v9
	v_ashrrev_i32_e32 v8, 31, v8
	v_xor_b32_e32 v9, vcc_hi, v8
	v_xor_b32_e32 v8, vcc_lo, v8
	v_and_b32_e32 v0, v0, v9
	v_and_b32_e32 v68, v68, v8
	v_lshlrev_b32_e32 v9, 27, v67
	v_mov_b32_e32 v8, v1
	v_cmp_gt_i64_e32 vcc, 0, v[8:9]
	v_not_b32_e32 v8, v9
	v_ashrrev_i32_e32 v8, 31, v8
	v_xor_b32_e32 v9, vcc_hi, v8
	v_xor_b32_e32 v8, vcc_lo, v8
	v_and_b32_e32 v0, v0, v9
	v_and_b32_e32 v68, v68, v8
	v_lshlrev_b32_e32 v9, 26, v67
	v_mov_b32_e32 v8, v1
	v_cmp_gt_i64_e32 vcc, 0, v[8:9]
	v_not_b32_e32 v8, v9
	v_ashrrev_i32_e32 v8, 31, v8
	v_xor_b32_e32 v9, vcc_hi, v8
	v_xor_b32_e32 v8, vcc_lo, v8
	v_and_b32_e32 v0, v0, v9
	v_and_b32_e32 v68, v68, v8
	v_lshlrev_b32_e32 v9, 25, v67
	v_mov_b32_e32 v8, v1
	v_cmp_gt_i64_e32 vcc, 0, v[8:9]
	v_not_b32_e32 v8, v9
	v_ashrrev_i32_e32 v8, 31, v8
	v_xor_b32_e32 v9, vcc_hi, v8
	v_xor_b32_e32 v8, vcc_lo, v8
	v_and_b32_e32 v0, v0, v9
	v_lshlrev_b32_e32 v9, 24, v67
	v_and_b32_e32 v68, v68, v8
	v_mov_b32_e32 v8, v1
	v_not_b32_e32 v1, v9
	v_cmp_gt_i64_e32 vcc, 0, v[8:9]
	v_ashrrev_i32_e32 v1, 31, v1
	ds_read_b32 v64, v66 offset:16
	v_xor_b32_e32 v8, vcc_hi, v1
	v_xor_b32_e32 v9, vcc_lo, v1
	v_and_b32_e32 v1, v0, v8
	v_and_b32_e32 v0, v68, v9
	v_mbcnt_lo_u32_b32 v8, v0, 0
	v_mbcnt_hi_u32_b32 v67, v1, v8
	v_cmp_eq_u32_e32 vcc, 0, v67
	v_cmp_ne_u64_e64 s[0:1], 0, v[0:1]
	s_and_b64 s[4:5], s[0:1], vcc
	; wave barrier
	s_and_saveexec_b64 s[0:1], s[4:5]
	s_cbranch_execz .LBB25_309
; %bb.308:
	v_bcnt_u32_b32 v0, v0, 0
	v_bcnt_u32_b32 v0, v1, v0
	s_waitcnt lgkmcnt(0)
	v_add_u32_e32 v0, v64, v0
	ds_write_b32 v66, v0 offset:16
.LBB25_309:
	s_or_b64 exec, exec, s[0:1]
	s_waitcnt vmcnt(9)
	v_xor_b32_e32 v65, 0x80000000, v65
	v_lshrrev_b32_e32 v0, s8, v65
	v_and_b32_e32 v70, s9, v0
	v_mul_lo_u32 v0, v70, 20
	v_lshl_add_u32 v69, v21, 2, v0
	v_and_b32_e32 v0, 1, v70
	v_mov_b32_e32 v1, 0
	v_lshl_add_u64 v[8:9], v[0:1], 0, -1
	v_cmp_ne_u32_e32 vcc, 0, v0
	; wave barrier
	s_nop 1
	v_xor_b32_e32 v8, vcc_lo, v8
	v_xor_b32_e32 v0, vcc_hi, v9
	v_and_b32_e32 v71, exec_lo, v8
	v_lshlrev_b32_e32 v9, 30, v70
	v_mov_b32_e32 v8, v1
	v_cmp_gt_i64_e32 vcc, 0, v[8:9]
	v_not_b32_e32 v8, v9
	v_ashrrev_i32_e32 v8, 31, v8
	v_and_b32_e32 v0, exec_hi, v0
	v_xor_b32_e32 v9, vcc_hi, v8
	v_xor_b32_e32 v8, vcc_lo, v8
	v_and_b32_e32 v0, v0, v9
	v_and_b32_e32 v71, v71, v8
	v_lshlrev_b32_e32 v9, 29, v70
	v_mov_b32_e32 v8, v1
	v_cmp_gt_i64_e32 vcc, 0, v[8:9]
	v_not_b32_e32 v8, v9
	v_ashrrev_i32_e32 v8, 31, v8
	v_xor_b32_e32 v9, vcc_hi, v8
	v_xor_b32_e32 v8, vcc_lo, v8
	v_and_b32_e32 v0, v0, v9
	v_and_b32_e32 v71, v71, v8
	v_lshlrev_b32_e32 v9, 28, v70
	v_mov_b32_e32 v8, v1
	v_cmp_gt_i64_e32 vcc, 0, v[8:9]
	v_not_b32_e32 v8, v9
	v_ashrrev_i32_e32 v8, 31, v8
	;; [unrolled: 9-line block ×6, first 2 shown]
	v_xor_b32_e32 v9, vcc_hi, v8
	v_xor_b32_e32 v8, vcc_lo, v8
	ds_read_b32 v68, v69 offset:16
	v_and_b32_e32 v8, v71, v8
	v_and_b32_e32 v9, v0, v9
	v_mbcnt_lo_u32_b32 v0, v8, 0
	v_mbcnt_hi_u32_b32 v70, v9, v0
	v_cmp_eq_u32_e32 vcc, 0, v70
	v_cmp_ne_u64_e64 s[0:1], 0, v[8:9]
	s_and_b64 s[4:5], s[0:1], vcc
	; wave barrier
	s_and_saveexec_b64 s[0:1], s[4:5]
	s_cbranch_execz .LBB25_311
; %bb.310:
	v_bcnt_u32_b32 v0, v8, 0
	v_bcnt_u32_b32 v0, v9, v0
	s_waitcnt lgkmcnt(0)
	v_add_u32_e32 v0, v68, v0
	ds_write_b32 v69, v0 offset:16
.LBB25_311:
	s_or_b64 exec, exec, s[0:1]
	s_waitcnt vmcnt(8)
	v_xor_b32_e32 v60, 0x80000000, v60
	v_lshrrev_b32_e32 v0, s8, v60
	v_and_b32_e32 v73, s9, v0
	v_mul_lo_u32 v0, v73, 20
	v_lshl_add_u32 v72, v21, 2, v0
	v_and_b32_e32 v0, 1, v73
	v_lshl_add_u64 v[8:9], v[0:1], 0, -1
	v_cmp_ne_u32_e32 vcc, 0, v0
	; wave barrier
	s_nop 1
	v_xor_b32_e32 v8, vcc_lo, v8
	v_xor_b32_e32 v0, vcc_hi, v9
	v_and_b32_e32 v74, exec_lo, v8
	v_lshlrev_b32_e32 v9, 30, v73
	v_mov_b32_e32 v8, v1
	v_cmp_gt_i64_e32 vcc, 0, v[8:9]
	v_not_b32_e32 v8, v9
	v_ashrrev_i32_e32 v8, 31, v8
	v_and_b32_e32 v0, exec_hi, v0
	v_xor_b32_e32 v9, vcc_hi, v8
	v_xor_b32_e32 v8, vcc_lo, v8
	v_and_b32_e32 v0, v0, v9
	v_and_b32_e32 v74, v74, v8
	v_lshlrev_b32_e32 v9, 29, v73
	v_mov_b32_e32 v8, v1
	v_cmp_gt_i64_e32 vcc, 0, v[8:9]
	v_not_b32_e32 v8, v9
	v_ashrrev_i32_e32 v8, 31, v8
	v_xor_b32_e32 v9, vcc_hi, v8
	v_xor_b32_e32 v8, vcc_lo, v8
	v_and_b32_e32 v0, v0, v9
	v_and_b32_e32 v74, v74, v8
	v_lshlrev_b32_e32 v9, 28, v73
	v_mov_b32_e32 v8, v1
	v_cmp_gt_i64_e32 vcc, 0, v[8:9]
	v_not_b32_e32 v8, v9
	v_ashrrev_i32_e32 v8, 31, v8
	;; [unrolled: 9-line block ×5, first 2 shown]
	v_xor_b32_e32 v9, vcc_hi, v8
	v_xor_b32_e32 v8, vcc_lo, v8
	v_and_b32_e32 v0, v0, v9
	v_lshlrev_b32_e32 v9, 24, v73
	v_and_b32_e32 v74, v74, v8
	v_mov_b32_e32 v8, v1
	v_not_b32_e32 v1, v9
	v_cmp_gt_i64_e32 vcc, 0, v[8:9]
	v_ashrrev_i32_e32 v1, 31, v1
	ds_read_b32 v71, v72 offset:16
	v_xor_b32_e32 v8, vcc_hi, v1
	v_xor_b32_e32 v9, vcc_lo, v1
	v_and_b32_e32 v1, v0, v8
	v_and_b32_e32 v0, v74, v9
	v_mbcnt_lo_u32_b32 v8, v0, 0
	v_mbcnt_hi_u32_b32 v73, v1, v8
	v_cmp_eq_u32_e32 vcc, 0, v73
	v_cmp_ne_u64_e64 s[0:1], 0, v[0:1]
	s_and_b64 s[4:5], s[0:1], vcc
	; wave barrier
	s_and_saveexec_b64 s[0:1], s[4:5]
	s_cbranch_execz .LBB25_313
; %bb.312:
	v_bcnt_u32_b32 v0, v0, 0
	v_bcnt_u32_b32 v0, v1, v0
	s_waitcnt lgkmcnt(0)
	v_add_u32_e32 v0, v71, v0
	ds_write_b32 v72, v0 offset:16
.LBB25_313:
	s_or_b64 exec, exec, s[0:1]
	s_waitcnt vmcnt(7)
	v_xor_b32_e32 v55, 0x80000000, v55
	v_lshrrev_b32_e32 v0, s8, v55
	v_and_b32_e32 v76, s9, v0
	v_mul_lo_u32 v0, v76, 20
	v_lshl_add_u32 v75, v21, 2, v0
	v_and_b32_e32 v0, 1, v76
	v_mov_b32_e32 v1, 0
	v_lshl_add_u64 v[8:9], v[0:1], 0, -1
	v_cmp_ne_u32_e32 vcc, 0, v0
	; wave barrier
	s_nop 1
	v_xor_b32_e32 v8, vcc_lo, v8
	v_xor_b32_e32 v0, vcc_hi, v9
	v_and_b32_e32 v77, exec_lo, v8
	v_lshlrev_b32_e32 v9, 30, v76
	v_mov_b32_e32 v8, v1
	v_cmp_gt_i64_e32 vcc, 0, v[8:9]
	v_not_b32_e32 v8, v9
	v_ashrrev_i32_e32 v8, 31, v8
	v_and_b32_e32 v0, exec_hi, v0
	v_xor_b32_e32 v9, vcc_hi, v8
	v_xor_b32_e32 v8, vcc_lo, v8
	v_and_b32_e32 v0, v0, v9
	v_and_b32_e32 v77, v77, v8
	v_lshlrev_b32_e32 v9, 29, v76
	v_mov_b32_e32 v8, v1
	v_cmp_gt_i64_e32 vcc, 0, v[8:9]
	v_not_b32_e32 v8, v9
	v_ashrrev_i32_e32 v8, 31, v8
	v_xor_b32_e32 v9, vcc_hi, v8
	v_xor_b32_e32 v8, vcc_lo, v8
	v_and_b32_e32 v0, v0, v9
	v_and_b32_e32 v77, v77, v8
	v_lshlrev_b32_e32 v9, 28, v76
	v_mov_b32_e32 v8, v1
	v_cmp_gt_i64_e32 vcc, 0, v[8:9]
	v_not_b32_e32 v8, v9
	v_ashrrev_i32_e32 v8, 31, v8
	;; [unrolled: 9-line block ×6, first 2 shown]
	v_xor_b32_e32 v9, vcc_hi, v8
	v_xor_b32_e32 v8, vcc_lo, v8
	ds_read_b32 v74, v75 offset:16
	v_and_b32_e32 v8, v77, v8
	v_and_b32_e32 v9, v0, v9
	v_mbcnt_lo_u32_b32 v0, v8, 0
	v_mbcnt_hi_u32_b32 v76, v9, v0
	v_cmp_eq_u32_e32 vcc, 0, v76
	v_cmp_ne_u64_e64 s[0:1], 0, v[8:9]
	s_and_b64 s[4:5], s[0:1], vcc
	; wave barrier
	s_and_saveexec_b64 s[0:1], s[4:5]
	s_cbranch_execz .LBB25_315
; %bb.314:
	v_bcnt_u32_b32 v0, v8, 0
	v_bcnt_u32_b32 v0, v9, v0
	s_waitcnt lgkmcnt(0)
	v_add_u32_e32 v0, v74, v0
	ds_write_b32 v75, v0 offset:16
.LBB25_315:
	s_or_b64 exec, exec, s[0:1]
	s_waitcnt vmcnt(6)
	v_xor_b32_e32 v50, 0x80000000, v50
	v_lshrrev_b32_e32 v0, s8, v50
	v_and_b32_e32 v79, s9, v0
	v_mul_lo_u32 v0, v79, 20
	v_lshl_add_u32 v78, v21, 2, v0
	v_and_b32_e32 v0, 1, v79
	v_lshl_add_u64 v[8:9], v[0:1], 0, -1
	v_cmp_ne_u32_e32 vcc, 0, v0
	; wave barrier
	s_nop 1
	v_xor_b32_e32 v8, vcc_lo, v8
	v_xor_b32_e32 v0, vcc_hi, v9
	v_and_b32_e32 v80, exec_lo, v8
	v_lshlrev_b32_e32 v9, 30, v79
	v_mov_b32_e32 v8, v1
	v_cmp_gt_i64_e32 vcc, 0, v[8:9]
	v_not_b32_e32 v8, v9
	v_ashrrev_i32_e32 v8, 31, v8
	v_and_b32_e32 v0, exec_hi, v0
	v_xor_b32_e32 v9, vcc_hi, v8
	v_xor_b32_e32 v8, vcc_lo, v8
	v_and_b32_e32 v0, v0, v9
	v_and_b32_e32 v80, v80, v8
	v_lshlrev_b32_e32 v9, 29, v79
	v_mov_b32_e32 v8, v1
	v_cmp_gt_i64_e32 vcc, 0, v[8:9]
	v_not_b32_e32 v8, v9
	v_ashrrev_i32_e32 v8, 31, v8
	v_xor_b32_e32 v9, vcc_hi, v8
	v_xor_b32_e32 v8, vcc_lo, v8
	v_and_b32_e32 v0, v0, v9
	v_and_b32_e32 v80, v80, v8
	v_lshlrev_b32_e32 v9, 28, v79
	v_mov_b32_e32 v8, v1
	v_cmp_gt_i64_e32 vcc, 0, v[8:9]
	v_not_b32_e32 v8, v9
	v_ashrrev_i32_e32 v8, 31, v8
	;; [unrolled: 9-line block ×5, first 2 shown]
	v_xor_b32_e32 v9, vcc_hi, v8
	v_xor_b32_e32 v8, vcc_lo, v8
	v_and_b32_e32 v0, v0, v9
	v_lshlrev_b32_e32 v9, 24, v79
	v_and_b32_e32 v80, v80, v8
	v_mov_b32_e32 v8, v1
	v_not_b32_e32 v1, v9
	v_cmp_gt_i64_e32 vcc, 0, v[8:9]
	v_ashrrev_i32_e32 v1, 31, v1
	ds_read_b32 v77, v78 offset:16
	v_xor_b32_e32 v8, vcc_hi, v1
	v_xor_b32_e32 v9, vcc_lo, v1
	v_and_b32_e32 v1, v0, v8
	v_and_b32_e32 v0, v80, v9
	v_mbcnt_lo_u32_b32 v8, v0, 0
	v_mbcnt_hi_u32_b32 v79, v1, v8
	v_cmp_eq_u32_e32 vcc, 0, v79
	v_cmp_ne_u64_e64 s[0:1], 0, v[0:1]
	s_and_b64 s[4:5], s[0:1], vcc
	; wave barrier
	s_and_saveexec_b64 s[0:1], s[4:5]
	s_cbranch_execz .LBB25_317
; %bb.316:
	v_bcnt_u32_b32 v0, v0, 0
	v_bcnt_u32_b32 v0, v1, v0
	s_waitcnt lgkmcnt(0)
	v_add_u32_e32 v0, v77, v0
	ds_write_b32 v78, v0 offset:16
.LBB25_317:
	s_or_b64 exec, exec, s[0:1]
	s_waitcnt vmcnt(5)
	v_xor_b32_e32 v45, 0x80000000, v45
	v_lshrrev_b32_e32 v0, s8, v45
	v_and_b32_e32 v82, s9, v0
	v_mul_lo_u32 v0, v82, 20
	v_lshl_add_u32 v81, v21, 2, v0
	v_and_b32_e32 v0, 1, v82
	v_mov_b32_e32 v1, 0
	v_lshl_add_u64 v[8:9], v[0:1], 0, -1
	v_cmp_ne_u32_e32 vcc, 0, v0
	; wave barrier
	s_nop 1
	v_xor_b32_e32 v8, vcc_lo, v8
	v_xor_b32_e32 v0, vcc_hi, v9
	v_and_b32_e32 v83, exec_lo, v8
	v_lshlrev_b32_e32 v9, 30, v82
	v_mov_b32_e32 v8, v1
	v_cmp_gt_i64_e32 vcc, 0, v[8:9]
	v_not_b32_e32 v8, v9
	v_ashrrev_i32_e32 v8, 31, v8
	v_and_b32_e32 v0, exec_hi, v0
	v_xor_b32_e32 v9, vcc_hi, v8
	v_xor_b32_e32 v8, vcc_lo, v8
	v_and_b32_e32 v0, v0, v9
	v_and_b32_e32 v83, v83, v8
	v_lshlrev_b32_e32 v9, 29, v82
	v_mov_b32_e32 v8, v1
	v_cmp_gt_i64_e32 vcc, 0, v[8:9]
	v_not_b32_e32 v8, v9
	v_ashrrev_i32_e32 v8, 31, v8
	v_xor_b32_e32 v9, vcc_hi, v8
	v_xor_b32_e32 v8, vcc_lo, v8
	v_and_b32_e32 v0, v0, v9
	v_and_b32_e32 v83, v83, v8
	v_lshlrev_b32_e32 v9, 28, v82
	v_mov_b32_e32 v8, v1
	v_cmp_gt_i64_e32 vcc, 0, v[8:9]
	v_not_b32_e32 v8, v9
	v_ashrrev_i32_e32 v8, 31, v8
	;; [unrolled: 9-line block ×6, first 2 shown]
	v_xor_b32_e32 v9, vcc_hi, v8
	v_xor_b32_e32 v8, vcc_lo, v8
	ds_read_b32 v80, v81 offset:16
	v_and_b32_e32 v8, v83, v8
	v_and_b32_e32 v9, v0, v9
	v_mbcnt_lo_u32_b32 v0, v8, 0
	v_mbcnt_hi_u32_b32 v82, v9, v0
	v_cmp_eq_u32_e32 vcc, 0, v82
	v_cmp_ne_u64_e64 s[0:1], 0, v[8:9]
	s_and_b64 s[4:5], s[0:1], vcc
	; wave barrier
	s_and_saveexec_b64 s[0:1], s[4:5]
	s_cbranch_execz .LBB25_319
; %bb.318:
	v_bcnt_u32_b32 v0, v8, 0
	v_bcnt_u32_b32 v0, v9, v0
	s_waitcnt lgkmcnt(0)
	v_add_u32_e32 v0, v80, v0
	ds_write_b32 v81, v0 offset:16
.LBB25_319:
	s_or_b64 exec, exec, s[0:1]
	s_waitcnt vmcnt(4)
	v_xor_b32_e32 v41, 0x80000000, v41
	v_lshrrev_b32_e32 v0, s8, v41
	v_and_b32_e32 v85, s9, v0
	v_mul_lo_u32 v0, v85, 20
	v_lshl_add_u32 v84, v21, 2, v0
	v_and_b32_e32 v0, 1, v85
	v_lshl_add_u64 v[8:9], v[0:1], 0, -1
	v_cmp_ne_u32_e32 vcc, 0, v0
	; wave barrier
	s_nop 1
	v_xor_b32_e32 v8, vcc_lo, v8
	v_xor_b32_e32 v0, vcc_hi, v9
	v_and_b32_e32 v86, exec_lo, v8
	v_lshlrev_b32_e32 v9, 30, v85
	v_mov_b32_e32 v8, v1
	v_cmp_gt_i64_e32 vcc, 0, v[8:9]
	v_not_b32_e32 v8, v9
	v_ashrrev_i32_e32 v8, 31, v8
	v_and_b32_e32 v0, exec_hi, v0
	v_xor_b32_e32 v9, vcc_hi, v8
	v_xor_b32_e32 v8, vcc_lo, v8
	v_and_b32_e32 v0, v0, v9
	v_and_b32_e32 v86, v86, v8
	v_lshlrev_b32_e32 v9, 29, v85
	v_mov_b32_e32 v8, v1
	v_cmp_gt_i64_e32 vcc, 0, v[8:9]
	v_not_b32_e32 v8, v9
	v_ashrrev_i32_e32 v8, 31, v8
	v_xor_b32_e32 v9, vcc_hi, v8
	v_xor_b32_e32 v8, vcc_lo, v8
	v_and_b32_e32 v0, v0, v9
	v_and_b32_e32 v86, v86, v8
	v_lshlrev_b32_e32 v9, 28, v85
	v_mov_b32_e32 v8, v1
	v_cmp_gt_i64_e32 vcc, 0, v[8:9]
	v_not_b32_e32 v8, v9
	v_ashrrev_i32_e32 v8, 31, v8
	;; [unrolled: 9-line block ×5, first 2 shown]
	v_xor_b32_e32 v9, vcc_hi, v8
	v_xor_b32_e32 v8, vcc_lo, v8
	v_and_b32_e32 v0, v0, v9
	v_lshlrev_b32_e32 v9, 24, v85
	v_and_b32_e32 v86, v86, v8
	v_mov_b32_e32 v8, v1
	v_not_b32_e32 v1, v9
	v_cmp_gt_i64_e32 vcc, 0, v[8:9]
	v_ashrrev_i32_e32 v1, 31, v1
	ds_read_b32 v83, v84 offset:16
	v_xor_b32_e32 v8, vcc_hi, v1
	v_xor_b32_e32 v9, vcc_lo, v1
	v_and_b32_e32 v1, v0, v8
	v_and_b32_e32 v0, v86, v9
	v_mbcnt_lo_u32_b32 v8, v0, 0
	v_mbcnt_hi_u32_b32 v85, v1, v8
	v_cmp_eq_u32_e32 vcc, 0, v85
	v_cmp_ne_u64_e64 s[0:1], 0, v[0:1]
	s_and_b64 s[4:5], s[0:1], vcc
	; wave barrier
	s_and_saveexec_b64 s[0:1], s[4:5]
	s_cbranch_execz .LBB25_321
; %bb.320:
	v_bcnt_u32_b32 v0, v0, 0
	v_bcnt_u32_b32 v0, v1, v0
	s_waitcnt lgkmcnt(0)
	v_add_u32_e32 v0, v83, v0
	ds_write_b32 v84, v0 offset:16
.LBB25_321:
	s_or_b64 exec, exec, s[0:1]
	s_waitcnt vmcnt(3)
	v_xor_b32_e32 v36, 0x80000000, v36
	v_lshrrev_b32_e32 v0, s8, v36
	v_and_b32_e32 v88, s9, v0
	v_mul_lo_u32 v0, v88, 20
	v_lshl_add_u32 v87, v21, 2, v0
	v_and_b32_e32 v0, 1, v88
	v_mov_b32_e32 v1, 0
	v_lshl_add_u64 v[8:9], v[0:1], 0, -1
	v_cmp_ne_u32_e32 vcc, 0, v0
	; wave barrier
	s_nop 1
	v_xor_b32_e32 v8, vcc_lo, v8
	v_xor_b32_e32 v0, vcc_hi, v9
	v_and_b32_e32 v89, exec_lo, v8
	v_lshlrev_b32_e32 v9, 30, v88
	v_mov_b32_e32 v8, v1
	v_cmp_gt_i64_e32 vcc, 0, v[8:9]
	v_not_b32_e32 v8, v9
	v_ashrrev_i32_e32 v8, 31, v8
	v_and_b32_e32 v0, exec_hi, v0
	v_xor_b32_e32 v9, vcc_hi, v8
	v_xor_b32_e32 v8, vcc_lo, v8
	v_and_b32_e32 v0, v0, v9
	v_and_b32_e32 v89, v89, v8
	v_lshlrev_b32_e32 v9, 29, v88
	v_mov_b32_e32 v8, v1
	v_cmp_gt_i64_e32 vcc, 0, v[8:9]
	v_not_b32_e32 v8, v9
	v_ashrrev_i32_e32 v8, 31, v8
	v_xor_b32_e32 v9, vcc_hi, v8
	v_xor_b32_e32 v8, vcc_lo, v8
	v_and_b32_e32 v0, v0, v9
	v_and_b32_e32 v89, v89, v8
	v_lshlrev_b32_e32 v9, 28, v88
	v_mov_b32_e32 v8, v1
	v_cmp_gt_i64_e32 vcc, 0, v[8:9]
	v_not_b32_e32 v8, v9
	v_ashrrev_i32_e32 v8, 31, v8
	;; [unrolled: 9-line block ×6, first 2 shown]
	v_xor_b32_e32 v9, vcc_hi, v8
	v_xor_b32_e32 v8, vcc_lo, v8
	ds_read_b32 v86, v87 offset:16
	v_and_b32_e32 v8, v89, v8
	v_and_b32_e32 v9, v0, v9
	v_mbcnt_lo_u32_b32 v0, v8, 0
	v_mbcnt_hi_u32_b32 v89, v9, v0
	v_cmp_eq_u32_e32 vcc, 0, v89
	v_cmp_ne_u64_e64 s[0:1], 0, v[8:9]
	s_and_b64 s[4:5], s[0:1], vcc
	; wave barrier
	s_and_saveexec_b64 s[0:1], s[4:5]
	s_cbranch_execz .LBB25_323
; %bb.322:
	v_bcnt_u32_b32 v0, v8, 0
	v_bcnt_u32_b32 v0, v9, v0
	s_waitcnt lgkmcnt(0)
	v_add_u32_e32 v0, v86, v0
	ds_write_b32 v87, v0 offset:16
.LBB25_323:
	s_or_b64 exec, exec, s[0:1]
	s_waitcnt vmcnt(2)
	v_xor_b32_e32 v88, 0x80000000, v31
	v_lshrrev_b32_e32 v0, s8, v88
	v_and_b32_e32 v91, s9, v0
	v_mul_lo_u32 v0, v91, 20
	v_lshl_add_u32 v31, v21, 2, v0
	v_and_b32_e32 v0, 1, v91
	v_lshl_add_u64 v[8:9], v[0:1], 0, -1
	v_cmp_ne_u32_e32 vcc, 0, v0
	; wave barrier
	s_nop 1
	v_xor_b32_e32 v8, vcc_lo, v8
	v_xor_b32_e32 v0, vcc_hi, v9
	v_and_b32_e32 v92, exec_lo, v8
	v_lshlrev_b32_e32 v9, 30, v91
	v_mov_b32_e32 v8, v1
	v_cmp_gt_i64_e32 vcc, 0, v[8:9]
	v_not_b32_e32 v8, v9
	v_ashrrev_i32_e32 v8, 31, v8
	v_and_b32_e32 v0, exec_hi, v0
	v_xor_b32_e32 v9, vcc_hi, v8
	v_xor_b32_e32 v8, vcc_lo, v8
	v_and_b32_e32 v0, v0, v9
	v_and_b32_e32 v92, v92, v8
	v_lshlrev_b32_e32 v9, 29, v91
	v_mov_b32_e32 v8, v1
	v_cmp_gt_i64_e32 vcc, 0, v[8:9]
	v_not_b32_e32 v8, v9
	v_ashrrev_i32_e32 v8, 31, v8
	v_xor_b32_e32 v9, vcc_hi, v8
	v_xor_b32_e32 v8, vcc_lo, v8
	v_and_b32_e32 v0, v0, v9
	v_and_b32_e32 v92, v92, v8
	v_lshlrev_b32_e32 v9, 28, v91
	v_mov_b32_e32 v8, v1
	v_cmp_gt_i64_e32 vcc, 0, v[8:9]
	v_not_b32_e32 v8, v9
	v_ashrrev_i32_e32 v8, 31, v8
	;; [unrolled: 9-line block ×5, first 2 shown]
	v_xor_b32_e32 v9, vcc_hi, v8
	v_xor_b32_e32 v8, vcc_lo, v8
	v_and_b32_e32 v0, v0, v9
	v_lshlrev_b32_e32 v9, 24, v91
	v_and_b32_e32 v92, v92, v8
	v_mov_b32_e32 v8, v1
	v_not_b32_e32 v1, v9
	v_cmp_gt_i64_e32 vcc, 0, v[8:9]
	v_ashrrev_i32_e32 v1, 31, v1
	ds_read_b32 v90, v31 offset:16
	v_xor_b32_e32 v8, vcc_hi, v1
	v_xor_b32_e32 v9, vcc_lo, v1
	v_and_b32_e32 v1, v0, v8
	v_and_b32_e32 v0, v92, v9
	v_mbcnt_lo_u32_b32 v8, v0, 0
	v_mbcnt_hi_u32_b32 v92, v1, v8
	v_cmp_eq_u32_e32 vcc, 0, v92
	v_cmp_ne_u64_e64 s[0:1], 0, v[0:1]
	s_and_b64 s[4:5], s[0:1], vcc
	; wave barrier
	s_and_saveexec_b64 s[0:1], s[4:5]
	s_cbranch_execz .LBB25_325
; %bb.324:
	v_bcnt_u32_b32 v0, v0, 0
	v_bcnt_u32_b32 v0, v1, v0
	s_waitcnt lgkmcnt(0)
	v_add_u32_e32 v0, v90, v0
	ds_write_b32 v31, v0 offset:16
.LBB25_325:
	s_or_b64 exec, exec, s[0:1]
	s_waitcnt vmcnt(1)
	v_xor_b32_e32 v91, 0x80000000, v26
	v_lshrrev_b32_e32 v0, s8, v91
	v_and_b32_e32 v94, s9, v0
	v_mul_lo_u32 v0, v94, 20
	v_lshl_add_u32 v26, v21, 2, v0
	v_and_b32_e32 v0, 1, v94
	v_mov_b32_e32 v1, 0
	v_lshl_add_u64 v[8:9], v[0:1], 0, -1
	v_cmp_ne_u32_e32 vcc, 0, v0
	; wave barrier
	s_nop 1
	v_xor_b32_e32 v8, vcc_lo, v8
	v_xor_b32_e32 v0, vcc_hi, v9
	v_and_b32_e32 v95, exec_lo, v8
	v_lshlrev_b32_e32 v9, 30, v94
	v_mov_b32_e32 v8, v1
	v_cmp_gt_i64_e32 vcc, 0, v[8:9]
	v_not_b32_e32 v8, v9
	v_ashrrev_i32_e32 v8, 31, v8
	v_and_b32_e32 v0, exec_hi, v0
	v_xor_b32_e32 v9, vcc_hi, v8
	v_xor_b32_e32 v8, vcc_lo, v8
	v_and_b32_e32 v0, v0, v9
	v_and_b32_e32 v95, v95, v8
	v_lshlrev_b32_e32 v9, 29, v94
	v_mov_b32_e32 v8, v1
	v_cmp_gt_i64_e32 vcc, 0, v[8:9]
	v_not_b32_e32 v8, v9
	v_ashrrev_i32_e32 v8, 31, v8
	v_xor_b32_e32 v9, vcc_hi, v8
	v_xor_b32_e32 v8, vcc_lo, v8
	v_and_b32_e32 v0, v0, v9
	v_and_b32_e32 v95, v95, v8
	v_lshlrev_b32_e32 v9, 28, v94
	v_mov_b32_e32 v8, v1
	v_cmp_gt_i64_e32 vcc, 0, v[8:9]
	v_not_b32_e32 v8, v9
	v_ashrrev_i32_e32 v8, 31, v8
	;; [unrolled: 9-line block ×6, first 2 shown]
	v_xor_b32_e32 v9, vcc_hi, v8
	v_xor_b32_e32 v8, vcc_lo, v8
	ds_read_b32 v93, v26 offset:16
	v_and_b32_e32 v8, v95, v8
	v_and_b32_e32 v9, v0, v9
	v_mbcnt_lo_u32_b32 v0, v8, 0
	v_mbcnt_hi_u32_b32 v95, v9, v0
	v_cmp_eq_u32_e32 vcc, 0, v95
	v_cmp_ne_u64_e64 s[0:1], 0, v[8:9]
	s_and_b64 s[4:5], s[0:1], vcc
	; wave barrier
	s_and_saveexec_b64 s[0:1], s[4:5]
	s_cbranch_execz .LBB25_327
; %bb.326:
	v_bcnt_u32_b32 v0, v8, 0
	v_bcnt_u32_b32 v0, v9, v0
	s_waitcnt lgkmcnt(0)
	v_add_u32_e32 v0, v93, v0
	ds_write_b32 v26, v0 offset:16
.LBB25_327:
	s_or_b64 exec, exec, s[0:1]
	s_waitcnt vmcnt(0)
	v_xor_b32_e32 v94, 0x80000000, v10
	v_lshrrev_b32_e32 v0, s8, v94
	v_and_b32_e32 v10, s9, v0
	v_mul_lo_u32 v0, v10, 20
	v_lshl_add_u32 v96, v21, 2, v0
	v_and_b32_e32 v0, 1, v10
	v_lshl_add_u64 v[8:9], v[0:1], 0, -1
	v_cmp_ne_u32_e32 vcc, 0, v0
	; wave barrier
	s_nop 1
	v_xor_b32_e32 v8, vcc_lo, v8
	v_xor_b32_e32 v0, vcc_hi, v9
	v_and_b32_e32 v97, exec_lo, v8
	v_lshlrev_b32_e32 v9, 30, v10
	v_mov_b32_e32 v8, v1
	v_cmp_gt_i64_e32 vcc, 0, v[8:9]
	v_not_b32_e32 v8, v9
	v_ashrrev_i32_e32 v8, 31, v8
	v_and_b32_e32 v0, exec_hi, v0
	v_xor_b32_e32 v9, vcc_hi, v8
	v_xor_b32_e32 v8, vcc_lo, v8
	v_and_b32_e32 v0, v0, v9
	v_and_b32_e32 v97, v97, v8
	v_lshlrev_b32_e32 v9, 29, v10
	v_mov_b32_e32 v8, v1
	v_cmp_gt_i64_e32 vcc, 0, v[8:9]
	v_not_b32_e32 v8, v9
	v_ashrrev_i32_e32 v8, 31, v8
	v_xor_b32_e32 v9, vcc_hi, v8
	v_xor_b32_e32 v8, vcc_lo, v8
	v_and_b32_e32 v0, v0, v9
	v_and_b32_e32 v97, v97, v8
	v_lshlrev_b32_e32 v9, 28, v10
	v_mov_b32_e32 v8, v1
	v_cmp_gt_i64_e32 vcc, 0, v[8:9]
	v_not_b32_e32 v8, v9
	v_ashrrev_i32_e32 v8, 31, v8
	;; [unrolled: 9-line block ×5, first 2 shown]
	v_xor_b32_e32 v9, vcc_hi, v8
	v_xor_b32_e32 v8, vcc_lo, v8
	v_and_b32_e32 v0, v0, v9
	v_lshlrev_b32_e32 v9, 24, v10
	v_and_b32_e32 v97, v97, v8
	v_mov_b32_e32 v8, v1
	v_not_b32_e32 v1, v9
	v_cmp_gt_i64_e32 vcc, 0, v[8:9]
	v_ashrrev_i32_e32 v1, 31, v1
	ds_read_b32 v21, v96 offset:16
	v_xor_b32_e32 v8, vcc_hi, v1
	v_xor_b32_e32 v9, vcc_lo, v1
	v_and_b32_e32 v1, v0, v8
	v_and_b32_e32 v0, v97, v9
	v_mbcnt_lo_u32_b32 v8, v0, 0
	v_mbcnt_hi_u32_b32 v97, v1, v8
	v_cmp_eq_u32_e32 vcc, 0, v97
	v_cmp_ne_u64_e64 s[0:1], 0, v[0:1]
	s_and_b64 s[4:5], s[0:1], vcc
	; wave barrier
	s_and_saveexec_b64 s[0:1], s[4:5]
	s_cbranch_execz .LBB25_329
; %bb.328:
	v_bcnt_u32_b32 v0, v0, 0
	v_bcnt_u32_b32 v0, v1, v0
	s_waitcnt lgkmcnt(0)
	v_add_u32_e32 v0, v21, v0
	ds_write_b32 v96, v0 offset:16
.LBB25_329:
	s_or_b64 exec, exec, s[0:1]
	; wave barrier
	s_waitcnt lgkmcnt(0)
	s_barrier
	ds_read2_b32 v[8:9], v3 offset0:4 offset1:5
	ds_read2_b32 v[0:1], v3 offset0:6 offset1:7
	ds_read_b32 v10, v3 offset:32
	v_min_u32_e32 v7, 0xc0, v7
	v_or_b32_e32 v7, 63, v7
	s_waitcnt lgkmcnt(1)
	v_add3_u32 v98, v9, v8, v0
	s_waitcnt lgkmcnt(0)
	v_add3_u32 v10, v98, v1, v10
	v_and_b32_e32 v98, 15, v4
	v_cmp_ne_u32_e32 vcc, 0, v98
	v_mov_b32_dpp v99, v10 row_shr:1 row_mask:0xf bank_mask:0xf
	s_nop 0
	v_cndmask_b32_e32 v99, 0, v99, vcc
	v_add_u32_e32 v10, v99, v10
	v_cmp_lt_u32_e32 vcc, 1, v98
	s_nop 0
	v_mov_b32_dpp v99, v10 row_shr:2 row_mask:0xf bank_mask:0xf
	v_cndmask_b32_e32 v99, 0, v99, vcc
	v_add_u32_e32 v10, v10, v99
	v_cmp_lt_u32_e32 vcc, 3, v98
	s_nop 0
	v_mov_b32_dpp v99, v10 row_shr:4 row_mask:0xf bank_mask:0xf
	;; [unrolled: 5-line block ×3, first 2 shown]
	v_cndmask_b32_e32 v98, 0, v99, vcc
	v_add_u32_e32 v10, v10, v98
	v_bfe_i32 v99, v4, 4, 1
	v_cmp_lt_u32_e32 vcc, 31, v4
	v_mov_b32_dpp v98, v10 row_bcast:15 row_mask:0xf bank_mask:0xf
	v_and_b32_e32 v98, v99, v98
	v_add_u32_e32 v10, v10, v98
	v_lshrrev_b32_e32 v99, 6, v2
	s_nop 0
	v_mov_b32_dpp v98, v10 row_bcast:31 row_mask:0xf bank_mask:0xf
	v_cndmask_b32_e32 v98, 0, v98, vcc
	v_add_u32_e32 v98, v10, v98
	v_cmp_eq_u32_e32 vcc, v2, v7
	s_and_saveexec_b64 s[0:1], vcc
; %bb.330:
	v_lshlrev_b32_e32 v7, 2, v99
	ds_write_b32 v7, v98
; %bb.331:
	s_or_b64 exec, exec, s[0:1]
	v_cmp_gt_u32_e32 vcc, 4, v2
	v_lshlrev_b32_e32 v10, 2, v2
	s_waitcnt lgkmcnt(0)
	s_barrier
	s_and_saveexec_b64 s[0:1], vcc
	s_cbranch_execz .LBB25_333
; %bb.332:
	ds_read_b32 v7, v10
	v_and_b32_e32 v100, 3, v4
	v_cmp_ne_u32_e32 vcc, 0, v100
	s_waitcnt lgkmcnt(0)
	v_mov_b32_dpp v101, v7 row_shr:1 row_mask:0xf bank_mask:0xf
	v_cndmask_b32_e32 v101, 0, v101, vcc
	v_add_u32_e32 v7, v101, v7
	v_cmp_lt_u32_e32 vcc, 1, v100
	s_nop 0
	v_mov_b32_dpp v101, v7 row_shr:2 row_mask:0xf bank_mask:0xf
	v_cndmask_b32_e32 v100, 0, v101, vcc
	v_add_u32_e32 v7, v7, v100
	ds_write_b32 v10, v7
.LBB25_333:
	s_or_b64 exec, exec, s[0:1]
	v_cmp_lt_u32_e32 vcc, 63, v2
	v_mov_b32_e32 v7, 0
	s_waitcnt lgkmcnt(0)
	s_barrier
	s_and_saveexec_b64 s[0:1], vcc
; %bb.334:
	v_lshl_add_u32 v7, v99, 2, -4
	ds_read_b32 v7, v7
; %bb.335:
	s_or_b64 exec, exec, s[0:1]
	v_add_u32_e32 v99, -1, v4
	v_and_b32_e32 v100, 64, v4
	v_cmp_lt_i32_e32 vcc, v99, v100
	s_waitcnt lgkmcnt(0)
	v_add_u32_e32 v98, v7, v98
	s_movk_i32 s0, 0x100
	v_cndmask_b32_e32 v99, v99, v4, vcc
	v_lshlrev_b32_e32 v99, 2, v99
	ds_bpermute_b32 v98, v99, v98
	v_cmp_eq_u32_e32 vcc, 0, v4
	s_waitcnt lgkmcnt(0)
	s_nop 0
	v_cndmask_b32_e32 v7, v98, v7, vcc
	v_cmp_ne_u32_e32 vcc, 0, v2
	s_nop 1
	v_cndmask_b32_e32 v7, 0, v7, vcc
	v_add_u32_e32 v8, v7, v8
	v_add_u32_e32 v9, v8, v9
	;; [unrolled: 1-line block ×4, first 2 shown]
	ds_write2_b32 v3, v7, v8 offset0:4 offset1:5
	ds_write2_b32 v3, v9, v0 offset0:6 offset1:7
	ds_write_b32 v3, v1 offset:32
	s_waitcnt lgkmcnt(0)
	s_barrier
	ds_read_b32 v8, v46 offset:16
	ds_read_b32 v9, v51 offset:16
	;; [unrolled: 1-line block ×23, first 2 shown]
	v_add_u32_e32 v3, 1, v2
	v_cmp_ne_u32_e32 vcc, s0, v3
	v_mov_b32_e32 v1, 0x1600
	s_and_saveexec_b64 s[0:1], vcc
; %bb.336:
	v_mul_u32_u24_e32 v1, 20, v3
	ds_read_b32 v1, v1 offset:16
; %bb.337:
	s_or_b64 exec, exec, s[0:1]
	s_waitcnt lgkmcnt(7)
	v_add_u32_e32 v25, v12, v14
	s_waitcnt lgkmcnt(6)
	v_add3_u32 v26, v18, v15, v16
	v_lshlrev_b32_e32 v3, 2, v25
	s_waitcnt lgkmcnt(5)
	v_add3_u32 v23, v23, v19, v20
	s_waitcnt lgkmcnt(0)
	s_barrier
	ds_write_b32 v3, v11 offset:2048
	v_lshlrev_b32_e32 v3, 2, v26
	v_add3_u32 v24, v28, v24, v31
	ds_write_b32 v3, v13 offset:2048
	v_lshlrev_b32_e32 v3, 2, v23
	v_add3_u32 v28, v33, v29, v30
	;; [unrolled: 3-line block ×19, first 2 shown]
	ds_write_b32 v3, v88 offset:2048
	v_lshlrev_b32_e32 v3, 2, v53
	v_sub_u32_e32 v8, v1, v0
	v_lshl_add_u32 v14, s2, 8, v2
	v_mov_b32_e32 v15, 0
	ds_write_b32 v3, v91 offset:2048
	v_lshlrev_b32_e32 v3, 2, v54
	v_lshl_add_u64 v[12:13], v[14:15], 2, s[90:91]
	v_or_b32_e32 v1, 2.0, v8
	v_mov_b32_e32 v7, v5
	ds_write_b32 v3, v94 offset:2048
	s_waitcnt lgkmcnt(0)
	s_barrier
	global_store_dword v[12:13], v1, off sc1
	s_mov_b64 s[0:1], 0
	s_brev_b32 s12, -4
	v_mov_b32_e32 v1, 0
                                        ; implicit-def: $sgpr4_sgpr5
	s_branch .LBB25_340
.LBB25_338:                             ;   in Loop: Header=BB25_340 Depth=1
	s_or_b64 exec, exec, s[10:11]
.LBB25_339:                             ;   in Loop: Header=BB25_340 Depth=1
	s_or_b64 exec, exec, s[4:5]
	v_and_b32_e32 v9, 0x3fffffff, v3
	v_add_u32_e32 v1, v9, v1
	v_cmp_gt_i32_e64 s[4:5], -2.0, v3
	s_and_b64 s[10:11], exec, s[4:5]
	s_or_b64 s[0:1], s[10:11], s[0:1]
	s_andn2_b64 exec, exec, s[0:1]
	s_cbranch_execz .LBB25_345
.LBB25_340:                             ; =>This Loop Header: Depth=1
                                        ;     Child Loop BB25_343 Depth 2
	s_or_b64 s[4:5], s[4:5], exec
	s_cmp_eq_u32 s3, 0
	s_cbranch_scc1 .LBB25_344
; %bb.341:                              ;   in Loop: Header=BB25_340 Depth=1
	s_add_i32 s3, s3, -1
	v_lshl_add_u32 v14, s3, 8, v2
	v_lshl_add_u64 v[16:17], v[14:15], 2, s[90:91]
	global_load_dword v3, v[16:17], off sc1
	s_waitcnt vmcnt(0)
	v_cmp_gt_u32_e32 vcc, 2.0, v3
	s_and_saveexec_b64 s[4:5], vcc
	s_cbranch_execz .LBB25_339
; %bb.342:                              ;   in Loop: Header=BB25_340 Depth=1
	s_mov_b64 s[10:11], 0
.LBB25_343:                             ;   Parent Loop BB25_340 Depth=1
                                        ; =>  This Inner Loop Header: Depth=2
	global_load_dword v3, v[16:17], off sc1
	s_waitcnt vmcnt(0)
	v_cmp_lt_u32_e32 vcc, s12, v3
	s_or_b64 s[10:11], vcc, s[10:11]
	s_andn2_b64 exec, exec, s[10:11]
	s_cbranch_execnz .LBB25_343
	s_branch .LBB25_338
.LBB25_344:                             ;   in Loop: Header=BB25_340 Depth=1
                                        ; implicit-def: $sgpr3
	s_and_b64 s[10:11], exec, s[4:5]
	s_or_b64 s[0:1], s[10:11], s[0:1]
	s_andn2_b64 exec, exec, s[0:1]
	s_cbranch_execnz .LBB25_340
.LBB25_345:
	s_or_b64 exec, exec, s[0:1]
	v_add_u32_e32 v3, v1, v8
	v_or_b32_e32 v3, 0x80000000, v3
	v_readlane_b32 s12, v104, 0
	v_lshlrev_b32_e32 v9, 3, v2
	global_store_dword v[12:13], v3, off sc1
	v_readlane_b32 s13, v104, 1
	v_sub_co_u32_e32 v14, vcc, v1, v0
	v_sub_u32_e32 v1, v9, v10
	s_nop 0
	v_subb_co_u32_e64 v15, s[0:1], 0, 0, vcc
	s_nop 0
	global_load_dwordx2 v[12:13], v9, s[12:13]
	v_mov_b32_e32 v3, 0
	v_mov_b32_e32 v11, v3
	v_or_b32_e32 v16, 0x1000, v10
	v_add_u32_e32 v18, 0x1400, v10
	v_add_u32_e32 v20, 0x1800, v10
	;; [unrolled: 1-line block ×3, first 2 shown]
	v_mov_b32_e32 v17, v3
	v_mov_b32_e32 v19, v3
	;; [unrolled: 1-line block ×4, first 2 shown]
	s_add_u32 s0, s96, s6
	s_addc_u32 s1, s97, 0
	v_lshl_add_u64 v[4:5], s[0:1], 0, v[4:5]
	v_lshl_add_u64 v[4:5], v[4:5], 0, v[6:7]
	s_add_i32 s7, s7, -1
	v_readlane_b32 s14, v104, 2
	v_readlane_b32 s15, v104, 3
	s_cmp_lg_u32 s2, s7
	s_waitcnt vmcnt(0)
	v_lshl_add_u64 v[12:13], v[14:15], 0, v[12:13]
	ds_write_b64 v9, v[12:13]
	s_waitcnt lgkmcnt(0)
	s_barrier
	ds_read2st64_b32 v[12:13], v1 offset0:8 offset1:12
	ds_read2st64_b32 v[14:15], v1 offset0:16 offset1:20
	;; [unrolled: 1-line block ×6, first 2 shown]
	s_waitcnt lgkmcnt(5)
	v_lshrrev_b32_e32 v22, s8, v12
	v_xor_b32_e32 v27, 0x80000000, v12
	v_lshrrev_b32_e32 v12, s8, v13
	v_xor_b32_e32 v32, 0x80000000, v13
	s_waitcnt lgkmcnt(4)
	v_lshrrev_b32_e32 v13, s8, v14
	v_xor_b32_e32 v41, 0x80000000, v14
	v_lshrrev_b32_e32 v14, s8, v15
	v_xor_b32_e32 v42, 0x80000000, v15
	;; [unrolled: 5-line block ×3, first 2 shown]
	s_waitcnt lgkmcnt(2)
	v_lshrrev_b32_e32 v52, s8, v58
	v_lshrrev_b32_e32 v56, s8, v59
	s_waitcnt lgkmcnt(1)
	v_lshrrev_b32_e32 v57, s8, v60
	v_and_b32_e32 v22, s9, v22
	v_and_b32_e32 v12, s9, v12
	;; [unrolled: 1-line block ×9, first 2 shown]
	v_lshlrev_b32_e32 v22, 3, v22
	v_xor_b32_e32 v55, 0x80000000, v58
	v_xor_b32_e32 v74, 0x80000000, v59
	v_lshlrev_b32_e32 v75, 3, v12
	v_lshlrev_b32_e32 v76, 3, v13
	;; [unrolled: 1-line block ×8, first 2 shown]
	ds_read_b64 v[12:13], v22
	ds_read_b64 v[14:15], v75
	;; [unrolled: 1-line block ×9, first 2 shown]
	s_waitcnt lgkmcnt(8)
	v_lshl_add_u64 v[12:13], v[12:13], 2, s[94:95]
	s_waitcnt lgkmcnt(7)
	v_lshl_add_u64 v[14:15], v[14:15], 2, s[94:95]
	;; [unrolled: 2-line block ×4, first 2 shown]
	v_lshl_add_u64 v[12:13], v[12:13], 0, v[10:11]
	v_lshl_add_u64 v[14:15], v[14:15], 0, v[10:11]
	;; [unrolled: 1-line block ×4, first 2 shown]
	v_lshrrev_b32_e32 v11, s8, v61
	s_waitcnt lgkmcnt(4)
	v_lshl_add_u64 v[64:65], v[64:65], 2, s[94:95]
	s_waitcnt lgkmcnt(3)
	v_lshl_add_u64 v[66:67], v[66:67], 2, s[94:95]
	s_waitcnt lgkmcnt(2)
	v_lshl_add_u64 v[68:69], v[68:69], 2, s[94:95]
	s_waitcnt lgkmcnt(1)
	v_lshl_add_u64 v[70:71], v[70:71], 2, s[94:95]
	v_and_b32_e32 v11, s9, v11
	v_lshl_add_u64 v[16:17], v[64:65], 0, v[16:17]
	v_lshl_add_u64 v[18:19], v[66:67], 0, v[18:19]
	;; [unrolled: 1-line block ×4, first 2 shown]
	global_store_dword v[12:13], v27, off
	global_store_dword v[14:15], v32, off offset:1024
	global_store_dword v[56:57], v41, off offset:2048
	;; [unrolled: 1-line block ×3, first 2 shown]
	global_store_dword v[16:17], v45, off
	global_store_dword v[18:19], v50, off
	global_store_dword v[20:21], v55, off
	global_store_dword v[36:37], v74, off
	v_lshlrev_b32_e32 v32, 3, v11
	v_lshrrev_b32_e32 v11, s8, v62
	v_and_b32_e32 v11, s9, v11
	v_lshlrev_b32_e32 v41, 3, v11
	v_lshrrev_b32_e32 v11, s8, v63
	v_and_b32_e32 v11, s9, v11
	v_lshlrev_b32_e32 v42, 3, v11
	ds_read_b64 v[12:13], v32
	ds_read_b64 v[14:15], v41
	;; [unrolled: 1-line block ×3, first 2 shown]
	s_waitcnt lgkmcnt(3)
	v_lshl_add_u64 v[18:19], v[72:73], 2, s[94:95]
	v_or_b32_e32 v20, 0x2000, v10
	v_mov_b32_e32 v21, v3
	v_xor_b32_e32 v60, 0x80000000, v60
	v_lshl_add_u64 v[18:19], v[18:19], 0, v[20:21]
	global_store_dword v[18:19], v60, off
	s_waitcnt lgkmcnt(2)
	v_lshl_add_u64 v[12:13], v[12:13], 2, s[94:95]
	v_add_u32_e32 v18, 0x2400, v10
	v_mov_b32_e32 v19, v3
	v_xor_b32_e32 v11, 0x80000000, v61
	v_lshl_add_u64 v[12:13], v[12:13], 0, v[18:19]
	global_store_dword v[12:13], v11, off
	s_waitcnt lgkmcnt(1)
	v_lshl_add_u64 v[12:13], v[14:15], 2, s[94:95]
	v_add_u32_e32 v14, 0x2800, v10
	v_mov_b32_e32 v15, v3
	v_lshl_add_u64 v[12:13], v[12:13], 0, v[14:15]
	ds_read2st64_b32 v[14:15], v1 offset0:56 offset1:60
	v_xor_b32_e32 v11, 0x80000000, v62
	global_store_dword v[12:13], v11, off
	s_waitcnt lgkmcnt(1)
	v_lshl_add_u64 v[12:13], v[16:17], 2, s[94:95]
	v_add_u32_e32 v16, 0x2c00, v10
	v_mov_b32_e32 v17, v3
	v_xor_b32_e32 v11, 0x80000000, v63
	v_lshl_add_u64 v[12:13], v[12:13], 0, v[16:17]
	global_store_dword v[12:13], v11, off
	s_waitcnt lgkmcnt(0)
	v_lshrrev_b32_e32 v11, s8, v14
	v_and_b32_e32 v11, s9, v11
	v_lshlrev_b32_e32 v45, 3, v11
	ds_read2st64_b32 v[12:13], v1 offset0:64 offset1:68
	ds_read_b64 v[16:17], v45
	v_lshrrev_b32_e32 v11, s8, v15
	v_and_b32_e32 v11, s9, v11
	v_lshlrev_b32_e32 v50, 3, v11
	s_waitcnt lgkmcnt(1)
	v_lshrrev_b32_e32 v11, s8, v12
	v_and_b32_e32 v11, s9, v11
	v_lshlrev_b32_e32 v55, 3, v11
	v_lshrrev_b32_e32 v11, s8, v13
	v_and_b32_e32 v11, s9, v11
	v_lshlrev_b32_e32 v60, 3, v11
	ds_read_b64 v[18:19], v50
	ds_read_b64 v[20:21], v55
	ds_read_b64 v[36:37], v60
	s_waitcnt lgkmcnt(3)
	v_lshl_add_u64 v[16:17], v[16:17], 2, s[94:95]
	v_or_b32_e32 v56, 0x3000, v10
	v_mov_b32_e32 v57, v3
	v_xor_b32_e32 v14, 0x80000000, v14
	v_lshl_add_u64 v[16:17], v[16:17], 0, v[56:57]
	global_store_dword v[16:17], v14, off
	v_xor_b32_e32 v11, 0x80000000, v15
	s_waitcnt lgkmcnt(2)
	v_lshl_add_u64 v[14:15], v[18:19], 2, s[94:95]
	v_add_u32_e32 v16, 0x3400, v10
	v_mov_b32_e32 v17, v3
	v_lshl_add_u64 v[14:15], v[14:15], 0, v[16:17]
	global_store_dword v[14:15], v11, off
	s_waitcnt lgkmcnt(1)
	v_lshl_add_u64 v[14:15], v[20:21], 2, s[94:95]
	v_add_u32_e32 v16, 0x3800, v10
	v_xor_b32_e32 v11, 0x80000000, v12
	v_lshl_add_u64 v[14:15], v[14:15], 0, v[16:17]
	global_store_dword v[14:15], v11, off
	ds_read2st64_b32 v[14:15], v1 offset0:72 offset1:76
	v_xor_b32_e32 v16, 0x80000000, v13
	s_waitcnt lgkmcnt(1)
	v_lshl_add_u64 v[12:13], v[36:37], 2, s[94:95]
	v_add_u32_e32 v10, 0x3c00, v10
	v_mov_b32_e32 v11, v3
	v_lshl_add_u64 v[10:11], v[12:13], 0, v[10:11]
	global_store_dword v[10:11], v16, off
	s_waitcnt lgkmcnt(0)
	v_lshrrev_b32_e32 v11, s8, v14
	v_and_b32_e32 v11, s9, v11
	v_lshlrev_b32_e32 v61, 3, v11
	ds_read2st64_b32 v[16:17], v1 offset0:80 offset1:84
	ds_read_b64 v[12:13], v61
	v_lshrrev_b32_e32 v11, s8, v15
	v_and_b32_e32 v11, s9, v11
	v_lshlrev_b32_e32 v62, 3, v11
	s_waitcnt lgkmcnt(1)
	v_lshrrev_b32_e32 v11, s8, v16
	v_and_b32_e32 v11, s9, v11
	v_lshlrev_b32_e32 v63, 3, v11
	v_lshrrev_b32_e32 v11, s8, v17
	v_or_b32_e32 v10, 0x1000, v2
	v_and_b32_e32 v11, s9, v11
	v_lshlrev_b32_e32 v64, 3, v11
	ds_read_b64 v[18:19], v62
	ds_read_b64 v[20:21], v63
	;; [unrolled: 1-line block ×3, first 2 shown]
	s_waitcnt lgkmcnt(3)
	v_lshl_add_u64 v[12:13], v[12:13], 2, s[94:95]
	v_lshlrev_b32_e32 v56, 2, v10
	v_xor_b32_e32 v14, 0x80000000, v14
	v_lshl_add_u64 v[12:13], v[12:13], 0, v[56:57]
	global_store_dword v[12:13], v14, off
	v_add_u32_e32 v12, 0x1100, v2
	v_xor_b32_e32 v11, 0x80000000, v15
	s_waitcnt lgkmcnt(2)
	v_lshl_add_u64 v[14:15], v[18:19], 2, s[94:95]
	v_lshlrev_b32_e32 v18, 2, v12
	v_mov_b32_e32 v19, v3
	v_lshl_add_u64 v[14:15], v[14:15], 0, v[18:19]
	global_store_dword v[14:15], v11, off
	v_add_u32_e32 v14, 0x1200, v2
	s_waitcnt lgkmcnt(1)
	v_lshl_add_u64 v[18:19], v[20:21], 2, s[94:95]
	v_lshlrev_b32_e32 v20, 2, v14
	v_mov_b32_e32 v21, v3
	v_xor_b32_e32 v11, 0x80000000, v16
	v_lshl_add_u64 v[18:19], v[18:19], 0, v[20:21]
	global_store_dword v[18:19], v11, off
	s_waitcnt lgkmcnt(0)
	v_lshl_add_u64 v[18:19], v[36:37], 2, s[94:95]
	ds_read2st64_b32 v[36:37], v1 offset0:88 offset1:92
	v_add_u32_e32 v16, 0x1300, v2
	v_lshlrev_b32_e32 v20, 2, v16
	v_lshl_add_u64 v[18:19], v[18:19], 0, v[20:21]
	v_xor_b32_e32 v11, 0x80000000, v17
	s_waitcnt lgkmcnt(0)
	v_lshrrev_b32_e32 v1, s8, v36
	v_and_b32_e32 v1, s9, v1
	v_lshlrev_b32_e32 v27, 3, v1
	ds_read_b64 v[20:21], v27
	v_lshrrev_b32_e32 v1, s8, v37
	v_and_b32_e32 v1, s9, v1
	v_lshlrev_b32_e32 v65, 3, v1
	ds_read_b64 v[56:57], v65
	global_store_dword v[18:19], v11, off
	v_or_b32_e32 v18, 0x1400, v2
	s_waitcnt lgkmcnt(1)
	v_lshl_add_u64 v[20:21], v[20:21], 2, s[94:95]
	v_lshlrev_b32_e32 v58, 2, v18
	v_mov_b32_e32 v59, v3
	v_xor_b32_e32 v11, 0x80000000, v36
	v_lshl_add_u64 v[20:21], v[20:21], 0, v[58:59]
	global_store_dword v[20:21], v11, off
	v_add_u32_e32 v20, 0x1500, v2
	v_xor_b32_e32 v1, 0x80000000, v37
	s_waitcnt lgkmcnt(0)
	v_lshl_add_u64 v[36:37], v[56:57], 2, s[94:95]
	v_lshlrev_b32_e32 v56, 2, v20
	v_mov_b32_e32 v57, v3
	v_lshl_add_u64 v[36:37], v[36:37], 0, v[56:57]
	global_store_dword v[36:37], v1, off
	global_load_ubyte v6, v[4:5], off
	global_load_ubyte v7, v[4:5], off offset:64
	s_nop 0
	global_load_ubyte v36, v[4:5], off offset:128
	global_load_ubyte v37, v[4:5], off offset:192
	;; [unrolled: 1-line block ×20, first 2 shown]
	s_barrier
	s_waitcnt vmcnt(21)
	ds_write_b8 v25, v6 offset:2048
	s_waitcnt vmcnt(20)
	ds_write_b8 v26, v7 offset:2048
	;; [unrolled: 2-line block ×22, first 2 shown]
	s_waitcnt lgkmcnt(0)
	s_barrier
	ds_read_b64 v[4:5], v22
	ds_read_u8 v30, v2 offset:2048
	ds_read_b64 v[6:7], v75
	ds_read_b64 v[22:23], v76
	;; [unrolled: 1-line block ×3, first 2 shown]
	s_waitcnt lgkmcnt(4)
	v_lshl_add_u64 v[4:5], s[98:99], 0, v[4:5]
	v_lshl_add_u64 v[4:5], v[4:5], 0, v[2:3]
	ds_read_u8 v31, v2 offset:2304
	ds_read_b64 v[26:27], v27
	ds_read_b64 v[28:29], v65
	s_waitcnt lgkmcnt(6)
	global_store_byte v[4:5], v30, off
	s_waitcnt lgkmcnt(5)
	v_lshl_add_u64 v[4:5], s[98:99], 0, v[6:7]
	v_lshl_add_u64 v[4:5], v[4:5], 0, v[2:3]
	s_waitcnt lgkmcnt(2)
	global_store_byte v[4:5], v31, off offset:256
	v_lshl_add_u64 v[4:5], s[98:99], 0, v[22:23]
	v_lshl_add_u64 v[4:5], v[4:5], 0, v[2:3]
	ds_read_u8 v6, v2 offset:2560
	ds_read_u8 v22, v2 offset:2816
	ds_read_u8 v30, v2 offset:3072
	ds_read_u8 v31, v2 offset:3328
	ds_read_u8 v33, v2 offset:3584
	ds_read_u8 v34, v2 offset:3840
	ds_read_u8 v35, v2 offset:4096
	ds_read_u8 v36, v2 offset:4352
	s_waitcnt lgkmcnt(7)
	global_store_byte v[4:5], v6, off offset:512
	v_lshl_add_u64 v[4:5], s[98:99], 0, v[24:25]
	v_lshl_add_u64 v[4:5], v[4:5], 0, v[2:3]
	ds_read_b64 v[6:7], v78
	s_waitcnt lgkmcnt(7)
	global_store_byte v[4:5], v22, off offset:768
	ds_read_b64 v[4:5], v47
	ds_read_b64 v[22:23], v52
	;; [unrolled: 1-line block ×3, first 2 shown]
	v_mov_b32_e32 v11, v3
	v_mov_b32_e32 v13, v3
	s_waitcnt lgkmcnt(3)
	v_lshl_add_u64 v[6:7], s[98:99], 0, v[6:7]
	s_waitcnt lgkmcnt(2)
	v_lshl_add_u64 v[4:5], s[98:99], 0, v[4:5]
	v_lshl_add_u64 v[6:7], v[6:7], 0, v[2:3]
	;; [unrolled: 1-line block ×3, first 2 shown]
	global_store_byte v[6:7], v30, off offset:1024
	global_store_byte v[4:5], v31, off offset:1280
	s_waitcnt lgkmcnt(1)
	v_lshl_add_u64 v[4:5], s[98:99], 0, v[22:23]
	v_lshl_add_u64 v[4:5], v[4:5], 0, v[2:3]
	global_store_byte v[4:5], v33, off offset:1536
	s_waitcnt lgkmcnt(0)
	v_lshl_add_u64 v[4:5], s[98:99], 0, v[24:25]
	v_lshl_add_u64 v[4:5], v[4:5], 0, v[2:3]
	ds_read_b64 v[6:7], v80
	global_store_byte v[4:5], v34, off offset:1792
	ds_read_b64 v[4:5], v32
	ds_read_b64 v[22:23], v41
	;; [unrolled: 1-line block ×3, first 2 shown]
	v_mov_b32_e32 v15, v3
	v_mov_b32_e32 v17, v3
	s_waitcnt lgkmcnt(3)
	v_lshl_add_u64 v[6:7], s[98:99], 0, v[6:7]
	s_waitcnt lgkmcnt(2)
	v_lshl_add_u64 v[4:5], s[98:99], 0, v[4:5]
	v_lshl_add_u64 v[6:7], v[6:7], 0, v[2:3]
	;; [unrolled: 1-line block ×3, first 2 shown]
	global_store_byte v[6:7], v35, off offset:2048
	global_store_byte v[4:5], v36, off offset:2304
	s_waitcnt lgkmcnt(1)
	v_lshl_add_u64 v[4:5], s[98:99], 0, v[22:23]
	v_lshl_add_u64 v[4:5], v[4:5], 0, v[2:3]
	ds_read_u8 v6, v2 offset:4608
	ds_read_u8 v22, v2 offset:4864
	ds_read_u8 v30, v2 offset:5120
	ds_read_u8 v31, v2 offset:5376
	ds_read_u8 v32, v2 offset:5632
	ds_read_u8 v33, v2 offset:5888
	ds_read_u8 v34, v2 offset:6144
	ds_read_u8 v35, v2 offset:6400
	s_waitcnt lgkmcnt(7)
	global_store_byte v[4:5], v6, off offset:2560
	v_lshl_add_u64 v[4:5], s[98:99], 0, v[24:25]
	v_lshl_add_u64 v[4:5], v[4:5], 0, v[2:3]
	ds_read_b64 v[6:7], v45
	s_waitcnt lgkmcnt(7)
	global_store_byte v[4:5], v22, off offset:2816
	ds_read_b64 v[4:5], v50
	ds_read_b64 v[22:23], v55
	;; [unrolled: 1-line block ×3, first 2 shown]
	v_mov_b32_e32 v19, v3
	v_mov_b32_e32 v21, v3
	s_waitcnt lgkmcnt(3)
	v_lshl_add_u64 v[6:7], s[98:99], 0, v[6:7]
	s_waitcnt lgkmcnt(2)
	v_lshl_add_u64 v[4:5], s[98:99], 0, v[4:5]
	v_lshl_add_u64 v[6:7], v[6:7], 0, v[2:3]
	;; [unrolled: 1-line block ×3, first 2 shown]
	global_store_byte v[6:7], v30, off offset:3072
	global_store_byte v[4:5], v31, off offset:3328
	s_waitcnt lgkmcnt(1)
	v_lshl_add_u64 v[4:5], s[98:99], 0, v[22:23]
	ds_read_b64 v[6:7], v61
	v_lshl_add_u64 v[4:5], v[4:5], 0, v[2:3]
	global_store_byte v[4:5], v32, off offset:3584
	s_waitcnt lgkmcnt(1)
	v_lshl_add_u64 v[4:5], s[98:99], 0, v[24:25]
	v_lshl_add_u64 v[4:5], v[4:5], 0, v[2:3]
	global_store_byte v[4:5], v33, off offset:3840
	ds_read_b64 v[4:5], v62
	ds_read_b64 v[22:23], v63
	;; [unrolled: 1-line block ×3, first 2 shown]
	s_waitcnt lgkmcnt(3)
	v_lshl_add_u64 v[6:7], s[98:99], 0, v[6:7]
	v_lshl_add_u64 v[6:7], v[6:7], 0, v[10:11]
	global_store_byte v[6:7], v34, off
	ds_read_u8 v6, v2 offset:6656
	s_waitcnt lgkmcnt(3)
	v_lshl_add_u64 v[4:5], s[98:99], 0, v[4:5]
	v_lshl_add_u64 v[4:5], v[4:5], 0, v[12:13]
	global_store_byte v[4:5], v35, off
	s_waitcnt lgkmcnt(2)
	v_lshl_add_u64 v[4:5], s[98:99], 0, v[22:23]
	v_lshl_add_u64 v[4:5], v[4:5], 0, v[14:15]
	ds_read_u8 v7, v2 offset:6912
	ds_read_u8 v10, v2 offset:7168
	;; [unrolled: 1-line block ×3, first 2 shown]
	s_waitcnt lgkmcnt(3)
	global_store_byte v[4:5], v6, off
	v_lshl_add_u64 v[4:5], s[98:99], 0, v[24:25]
	v_lshl_add_u64 v[4:5], v[4:5], 0, v[16:17]
	s_waitcnt lgkmcnt(2)
	global_store_byte v[4:5], v7, off
	v_lshl_add_u64 v[4:5], s[98:99], 0, v[26:27]
	v_lshl_add_u64 v[4:5], v[4:5], 0, v[18:19]
	;; [unrolled: 4-line block ×3, first 2 shown]
	s_waitcnt lgkmcnt(0)
	global_store_byte v[4:5], v11, off
	s_cbranch_scc1 .LBB25_347
; %bb.346:
	ds_read_b64 v[4:5], v9
	v_mov_b32_e32 v1, v3
	v_mov_b32_e32 v9, v3
	v_lshl_add_u64 v[0:1], v[8:9], 0, v[0:1]
	v_lshlrev_b32_e32 v2, 3, v2
	s_waitcnt lgkmcnt(0)
	v_lshl_add_u64 v[0:1], v[0:1], 0, v[4:5]
	global_store_dwordx2 v2, v[0:1], s[14:15]
.LBB25_347:
	s_endpgm
	.section	.rodata,"a",@progbits
	.p2align	6, 0x0
	.amdhsa_kernel _ZN7rocprim17ROCPRIM_304000_NS6detail25onesweep_iteration_kernelINS1_34wrapped_radix_sort_onesweep_configINS0_14default_configEiN2at4cuda3cub6detail10OpaqueTypeILi1EEEEELb0EPiSC_PSA_SD_mNS0_19identity_decomposerEEEvT1_T2_T3_T4_jPT5_SK_PNS1_23onesweep_lookback_stateET6_jjj
		.amdhsa_group_segment_fixed_size 24576
		.amdhsa_private_segment_fixed_size 0
		.amdhsa_kernarg_size 336
		.amdhsa_user_sgpr_count 2
		.amdhsa_user_sgpr_dispatch_ptr 0
		.amdhsa_user_sgpr_queue_ptr 0
		.amdhsa_user_sgpr_kernarg_segment_ptr 1
		.amdhsa_user_sgpr_dispatch_id 0
		.amdhsa_user_sgpr_kernarg_preload_length 0
		.amdhsa_user_sgpr_kernarg_preload_offset 0
		.amdhsa_user_sgpr_private_segment_size 0
		.amdhsa_uses_dynamic_stack 0
		.amdhsa_enable_private_segment 0
		.amdhsa_system_sgpr_workgroup_id_x 1
		.amdhsa_system_sgpr_workgroup_id_y 0
		.amdhsa_system_sgpr_workgroup_id_z 0
		.amdhsa_system_sgpr_workgroup_info 0
		.amdhsa_system_vgpr_workitem_id 2
		.amdhsa_next_free_vgpr 105
		.amdhsa_next_free_sgpr 100
		.amdhsa_accum_offset 108
		.amdhsa_reserve_vcc 1
		.amdhsa_float_round_mode_32 0
		.amdhsa_float_round_mode_16_64 0
		.amdhsa_float_denorm_mode_32 3
		.amdhsa_float_denorm_mode_16_64 3
		.amdhsa_dx10_clamp 1
		.amdhsa_ieee_mode 1
		.amdhsa_fp16_overflow 0
		.amdhsa_tg_split 0
		.amdhsa_exception_fp_ieee_invalid_op 0
		.amdhsa_exception_fp_denorm_src 0
		.amdhsa_exception_fp_ieee_div_zero 0
		.amdhsa_exception_fp_ieee_overflow 0
		.amdhsa_exception_fp_ieee_underflow 0
		.amdhsa_exception_fp_ieee_inexact 0
		.amdhsa_exception_int_div_zero 0
	.end_amdhsa_kernel
	.section	.text._ZN7rocprim17ROCPRIM_304000_NS6detail25onesweep_iteration_kernelINS1_34wrapped_radix_sort_onesweep_configINS0_14default_configEiN2at4cuda3cub6detail10OpaqueTypeILi1EEEEELb0EPiSC_PSA_SD_mNS0_19identity_decomposerEEEvT1_T2_T3_T4_jPT5_SK_PNS1_23onesweep_lookback_stateET6_jjj,"axG",@progbits,_ZN7rocprim17ROCPRIM_304000_NS6detail25onesweep_iteration_kernelINS1_34wrapped_radix_sort_onesweep_configINS0_14default_configEiN2at4cuda3cub6detail10OpaqueTypeILi1EEEEELb0EPiSC_PSA_SD_mNS0_19identity_decomposerEEEvT1_T2_T3_T4_jPT5_SK_PNS1_23onesweep_lookback_stateET6_jjj,comdat
.Lfunc_end25:
	.size	_ZN7rocprim17ROCPRIM_304000_NS6detail25onesweep_iteration_kernelINS1_34wrapped_radix_sort_onesweep_configINS0_14default_configEiN2at4cuda3cub6detail10OpaqueTypeILi1EEEEELb0EPiSC_PSA_SD_mNS0_19identity_decomposerEEEvT1_T2_T3_T4_jPT5_SK_PNS1_23onesweep_lookback_stateET6_jjj, .Lfunc_end25-_ZN7rocprim17ROCPRIM_304000_NS6detail25onesweep_iteration_kernelINS1_34wrapped_radix_sort_onesweep_configINS0_14default_configEiN2at4cuda3cub6detail10OpaqueTypeILi1EEEEELb0EPiSC_PSA_SD_mNS0_19identity_decomposerEEEvT1_T2_T3_T4_jPT5_SK_PNS1_23onesweep_lookback_stateET6_jjj
                                        ; -- End function
	.set _ZN7rocprim17ROCPRIM_304000_NS6detail25onesweep_iteration_kernelINS1_34wrapped_radix_sort_onesweep_configINS0_14default_configEiN2at4cuda3cub6detail10OpaqueTypeILi1EEEEELb0EPiSC_PSA_SD_mNS0_19identity_decomposerEEEvT1_T2_T3_T4_jPT5_SK_PNS1_23onesweep_lookback_stateET6_jjj.num_vgpr, 105
	.set _ZN7rocprim17ROCPRIM_304000_NS6detail25onesweep_iteration_kernelINS1_34wrapped_radix_sort_onesweep_configINS0_14default_configEiN2at4cuda3cub6detail10OpaqueTypeILi1EEEEELb0EPiSC_PSA_SD_mNS0_19identity_decomposerEEEvT1_T2_T3_T4_jPT5_SK_PNS1_23onesweep_lookback_stateET6_jjj.num_agpr, 0
	.set _ZN7rocprim17ROCPRIM_304000_NS6detail25onesweep_iteration_kernelINS1_34wrapped_radix_sort_onesweep_configINS0_14default_configEiN2at4cuda3cub6detail10OpaqueTypeILi1EEEEELb0EPiSC_PSA_SD_mNS0_19identity_decomposerEEEvT1_T2_T3_T4_jPT5_SK_PNS1_23onesweep_lookback_stateET6_jjj.numbered_sgpr, 100
	.set _ZN7rocprim17ROCPRIM_304000_NS6detail25onesweep_iteration_kernelINS1_34wrapped_radix_sort_onesweep_configINS0_14default_configEiN2at4cuda3cub6detail10OpaqueTypeILi1EEEEELb0EPiSC_PSA_SD_mNS0_19identity_decomposerEEEvT1_T2_T3_T4_jPT5_SK_PNS1_23onesweep_lookback_stateET6_jjj.num_named_barrier, 0
	.set _ZN7rocprim17ROCPRIM_304000_NS6detail25onesweep_iteration_kernelINS1_34wrapped_radix_sort_onesweep_configINS0_14default_configEiN2at4cuda3cub6detail10OpaqueTypeILi1EEEEELb0EPiSC_PSA_SD_mNS0_19identity_decomposerEEEvT1_T2_T3_T4_jPT5_SK_PNS1_23onesweep_lookback_stateET6_jjj.private_seg_size, 0
	.set _ZN7rocprim17ROCPRIM_304000_NS6detail25onesweep_iteration_kernelINS1_34wrapped_radix_sort_onesweep_configINS0_14default_configEiN2at4cuda3cub6detail10OpaqueTypeILi1EEEEELb0EPiSC_PSA_SD_mNS0_19identity_decomposerEEEvT1_T2_T3_T4_jPT5_SK_PNS1_23onesweep_lookback_stateET6_jjj.uses_vcc, 1
	.set _ZN7rocprim17ROCPRIM_304000_NS6detail25onesweep_iteration_kernelINS1_34wrapped_radix_sort_onesweep_configINS0_14default_configEiN2at4cuda3cub6detail10OpaqueTypeILi1EEEEELb0EPiSC_PSA_SD_mNS0_19identity_decomposerEEEvT1_T2_T3_T4_jPT5_SK_PNS1_23onesweep_lookback_stateET6_jjj.uses_flat_scratch, 0
	.set _ZN7rocprim17ROCPRIM_304000_NS6detail25onesweep_iteration_kernelINS1_34wrapped_radix_sort_onesweep_configINS0_14default_configEiN2at4cuda3cub6detail10OpaqueTypeILi1EEEEELb0EPiSC_PSA_SD_mNS0_19identity_decomposerEEEvT1_T2_T3_T4_jPT5_SK_PNS1_23onesweep_lookback_stateET6_jjj.has_dyn_sized_stack, 0
	.set _ZN7rocprim17ROCPRIM_304000_NS6detail25onesweep_iteration_kernelINS1_34wrapped_radix_sort_onesweep_configINS0_14default_configEiN2at4cuda3cub6detail10OpaqueTypeILi1EEEEELb0EPiSC_PSA_SD_mNS0_19identity_decomposerEEEvT1_T2_T3_T4_jPT5_SK_PNS1_23onesweep_lookback_stateET6_jjj.has_recursion, 0
	.set _ZN7rocprim17ROCPRIM_304000_NS6detail25onesweep_iteration_kernelINS1_34wrapped_radix_sort_onesweep_configINS0_14default_configEiN2at4cuda3cub6detail10OpaqueTypeILi1EEEEELb0EPiSC_PSA_SD_mNS0_19identity_decomposerEEEvT1_T2_T3_T4_jPT5_SK_PNS1_23onesweep_lookback_stateET6_jjj.has_indirect_call, 0
	.section	.AMDGPU.csdata,"",@progbits
; Kernel info:
; codeLenInByte = 32128
; TotalNumSgprs: 106
; NumVgprs: 105
; NumAgprs: 0
; TotalNumVgprs: 105
; ScratchSize: 0
; MemoryBound: 0
; FloatMode: 240
; IeeeMode: 1
; LDSByteSize: 24576 bytes/workgroup (compile time only)
; SGPRBlocks: 13
; VGPRBlocks: 13
; NumSGPRsForWavesPerEU: 106
; NumVGPRsForWavesPerEU: 105
; AccumOffset: 108
; Occupancy: 4
; WaveLimiterHint : 1
; COMPUTE_PGM_RSRC2:SCRATCH_EN: 0
; COMPUTE_PGM_RSRC2:USER_SGPR: 2
; COMPUTE_PGM_RSRC2:TRAP_HANDLER: 0
; COMPUTE_PGM_RSRC2:TGID_X_EN: 1
; COMPUTE_PGM_RSRC2:TGID_Y_EN: 0
; COMPUTE_PGM_RSRC2:TGID_Z_EN: 0
; COMPUTE_PGM_RSRC2:TIDIG_COMP_CNT: 2
; COMPUTE_PGM_RSRC3_GFX90A:ACCUM_OFFSET: 26
; COMPUTE_PGM_RSRC3_GFX90A:TG_SPLIT: 0
	.section	.AMDGPU.gpr_maximums,"",@progbits
	.set amdgpu.max_num_vgpr, 0
	.set amdgpu.max_num_agpr, 0
	.set amdgpu.max_num_sgpr, 0
	.section	.AMDGPU.csdata,"",@progbits
	.type	__hip_cuid_74ce1e11367dcb9f,@object ; @__hip_cuid_74ce1e11367dcb9f
	.section	.bss,"aw",@nobits
	.globl	__hip_cuid_74ce1e11367dcb9f
__hip_cuid_74ce1e11367dcb9f:
	.byte	0                               ; 0x0
	.size	__hip_cuid_74ce1e11367dcb9f, 1

	.ident	"AMD clang version 22.0.0git (https://github.com/RadeonOpenCompute/llvm-project roc-7.2.4 26084 f58b06dce1f9c15707c5f808fd002e18c2accf7e)"
	.section	".note.GNU-stack","",@progbits
	.addrsig
	.addrsig_sym __hip_cuid_74ce1e11367dcb9f
	.amdgpu_metadata
---
amdhsa.kernels:
  - .agpr_count:     0
    .args:
      - .address_space:  global
        .offset:         0
        .size:           8
        .value_kind:     global_buffer
      - .address_space:  global
        .offset:         8
        .size:           8
        .value_kind:     global_buffer
      - .address_space:  global
        .offset:         16
        .size:           8
        .value_kind:     global_buffer
      - .address_space:  global
        .offset:         24
        .size:           8
        .value_kind:     global_buffer
      - .offset:         32
        .size:           4
        .value_kind:     by_value
      - .offset:         36
        .size:           1
        .value_kind:     by_value
      - .offset:         40
        .size:           4
        .value_kind:     by_value
      - .offset:         44
        .size:           4
        .value_kind:     by_value
      - .offset:         48
        .size:           4
        .value_kind:     hidden_block_count_x
      - .offset:         52
        .size:           4
        .value_kind:     hidden_block_count_y
      - .offset:         56
        .size:           4
        .value_kind:     hidden_block_count_z
      - .offset:         60
        .size:           2
        .value_kind:     hidden_group_size_x
      - .offset:         62
        .size:           2
        .value_kind:     hidden_group_size_y
      - .offset:         64
        .size:           2
        .value_kind:     hidden_group_size_z
      - .offset:         66
        .size:           2
        .value_kind:     hidden_remainder_x
      - .offset:         68
        .size:           2
        .value_kind:     hidden_remainder_y
      - .offset:         70
        .size:           2
        .value_kind:     hidden_remainder_z
      - .offset:         88
        .size:           8
        .value_kind:     hidden_global_offset_x
      - .offset:         96
        .size:           8
        .value_kind:     hidden_global_offset_y
      - .offset:         104
        .size:           8
        .value_kind:     hidden_global_offset_z
      - .offset:         112
        .size:           2
        .value_kind:     hidden_grid_dims
    .group_segment_fixed_size: 4112
    .kernarg_segment_align: 8
    .kernarg_segment_size: 304
    .language:       OpenCL C
    .language_version:
      - 2
      - 0
    .max_flat_workgroup_size: 256
    .name:           _ZN7rocprim17ROCPRIM_304000_NS6detail28radix_sort_block_sort_kernelINS1_36wrapped_radix_sort_block_sort_configINS0_13kernel_configILj256ELj4ELj4294967295EEEiN2at4cuda3cub6detail10OpaqueTypeILi1EEEEELb1EPKiPiPKSB_PSB_NS0_19identity_decomposerEEEvT1_T2_T3_T4_jT5_jj
    .private_segment_fixed_size: 0
    .sgpr_count:     52
    .sgpr_spill_count: 0
    .symbol:         _ZN7rocprim17ROCPRIM_304000_NS6detail28radix_sort_block_sort_kernelINS1_36wrapped_radix_sort_block_sort_configINS0_13kernel_configILj256ELj4ELj4294967295EEEiN2at4cuda3cub6detail10OpaqueTypeILi1EEEEELb1EPKiPiPKSB_PSB_NS0_19identity_decomposerEEEvT1_T2_T3_T4_jT5_jj.kd
    .uniform_work_group_size: 1
    .uses_dynamic_stack: false
    .vgpr_count:     47
    .vgpr_spill_count: 0
    .wavefront_size: 64
  - .agpr_count:     0
    .args:           []
    .group_segment_fixed_size: 0
    .kernarg_segment_align: 4
    .kernarg_segment_size: 0
    .language:       OpenCL C
    .language_version:
      - 2
      - 0
    .max_flat_workgroup_size: 1024
    .name:           _ZN7rocprim17ROCPRIM_304000_NS6detail39device_merge_sort_compile_time_verifierINS1_36wrapped_merge_sort_block_sort_configINS1_28merge_sort_block_sort_configILj256ELj4ELNS0_20block_sort_algorithmE0EEEiN2at4cuda3cub6detail10OpaqueTypeILi1EEEEENS1_37wrapped_merge_sort_block_merge_configINS0_14default_configEiSC_EEEEvv
    .private_segment_fixed_size: 0
    .sgpr_count:     6
    .sgpr_spill_count: 0
    .symbol:         _ZN7rocprim17ROCPRIM_304000_NS6detail39device_merge_sort_compile_time_verifierINS1_36wrapped_merge_sort_block_sort_configINS1_28merge_sort_block_sort_configILj256ELj4ELNS0_20block_sort_algorithmE0EEEiN2at4cuda3cub6detail10OpaqueTypeILi1EEEEENS1_37wrapped_merge_sort_block_merge_configINS0_14default_configEiSC_EEEEvv.kd
    .uniform_work_group_size: 1
    .uses_dynamic_stack: false
    .vgpr_count:     0
    .vgpr_spill_count: 0
    .wavefront_size: 64
  - .agpr_count:     0
    .args:
      - .address_space:  global
        .offset:         0
        .size:           8
        .value_kind:     global_buffer
      - .offset:         8
        .size:           4
        .value_kind:     by_value
      - .offset:         12
        .size:           4
        .value_kind:     by_value
      - .address_space:  global
        .offset:         16
        .size:           8
        .value_kind:     global_buffer
      - .offset:         24
        .size:           1
        .value_kind:     by_value
      - .offset:         28
        .size:           4
        .value_kind:     by_value
    .group_segment_fixed_size: 0
    .kernarg_segment_align: 8
    .kernarg_segment_size: 32
    .language:       OpenCL C
    .language_version:
      - 2
      - 0
    .max_flat_workgroup_size: 128
    .name:           _ZN7rocprim17ROCPRIM_304000_NS6detail45device_block_merge_mergepath_partition_kernelINS1_37wrapped_merge_sort_block_merge_configINS0_14default_configEiN2at4cuda3cub6detail10OpaqueTypeILi1EEEEEPijNS1_19radix_merge_compareILb1ELb0EiNS0_19identity_decomposerEEEEEvT0_T1_jPSH_T2_SH_
    .private_segment_fixed_size: 0
    .sgpr_count:     12
    .sgpr_spill_count: 0
    .symbol:         _ZN7rocprim17ROCPRIM_304000_NS6detail45device_block_merge_mergepath_partition_kernelINS1_37wrapped_merge_sort_block_merge_configINS0_14default_configEiN2at4cuda3cub6detail10OpaqueTypeILi1EEEEEPijNS1_19radix_merge_compareILb1ELb0EiNS0_19identity_decomposerEEEEEvT0_T1_jPSH_T2_SH_.kd
    .uniform_work_group_size: 1
    .uses_dynamic_stack: false
    .vgpr_count:     17
    .vgpr_spill_count: 0
    .wavefront_size: 64
  - .agpr_count:     0
    .args:
      - .address_space:  global
        .offset:         0
        .size:           8
        .value_kind:     global_buffer
      - .address_space:  global
        .offset:         8
        .size:           8
        .value_kind:     global_buffer
      - .address_space:  global
        .offset:         16
        .size:           8
        .value_kind:     global_buffer
      - .address_space:  global
        .offset:         24
        .size:           8
        .value_kind:     global_buffer
      - .offset:         32
        .size:           4
        .value_kind:     by_value
      - .offset:         36
        .size:           4
        .value_kind:     by_value
      - .offset:         40
        .size:           4
        .value_kind:     by_value
      - .offset:         44
        .size:           1
        .value_kind:     by_value
      - .address_space:  global
        .offset:         48
        .size:           8
        .value_kind:     global_buffer
      - .address_space:  global
        .offset:         56
        .size:           8
        .value_kind:     global_buffer
      - .offset:         64
        .size:           4
        .value_kind:     hidden_block_count_x
      - .offset:         68
        .size:           4
        .value_kind:     hidden_block_count_y
      - .offset:         72
        .size:           4
        .value_kind:     hidden_block_count_z
      - .offset:         76
        .size:           2
        .value_kind:     hidden_group_size_x
      - .offset:         78
        .size:           2
        .value_kind:     hidden_group_size_y
      - .offset:         80
        .size:           2
        .value_kind:     hidden_group_size_z
      - .offset:         82
        .size:           2
        .value_kind:     hidden_remainder_x
      - .offset:         84
        .size:           2
        .value_kind:     hidden_remainder_y
      - .offset:         86
        .size:           2
        .value_kind:     hidden_remainder_z
      - .offset:         104
        .size:           8
        .value_kind:     hidden_global_offset_x
      - .offset:         112
        .size:           8
        .value_kind:     hidden_global_offset_y
      - .offset:         120
        .size:           8
        .value_kind:     hidden_global_offset_z
      - .offset:         128
        .size:           2
        .value_kind:     hidden_grid_dims
    .group_segment_fixed_size: 4224
    .kernarg_segment_align: 8
    .kernarg_segment_size: 320
    .language:       OpenCL C
    .language_version:
      - 2
      - 0
    .max_flat_workgroup_size: 128
    .name:           _ZN7rocprim17ROCPRIM_304000_NS6detail35device_block_merge_mergepath_kernelINS1_37wrapped_merge_sort_block_merge_configINS0_14default_configEiN2at4cuda3cub6detail10OpaqueTypeILi1EEEEEPiSC_PSA_SD_jNS1_19radix_merge_compareILb1ELb0EiNS0_19identity_decomposerEEEEEvT0_T1_T2_T3_T4_SL_jT5_PKSL_NS1_7vsmem_tE
    .private_segment_fixed_size: 0
    .sgpr_count:     40
    .sgpr_spill_count: 0
    .symbol:         _ZN7rocprim17ROCPRIM_304000_NS6detail35device_block_merge_mergepath_kernelINS1_37wrapped_merge_sort_block_merge_configINS0_14default_configEiN2at4cuda3cub6detail10OpaqueTypeILi1EEEEEPiSC_PSA_SD_jNS1_19radix_merge_compareILb1ELb0EiNS0_19identity_decomposerEEEEEvT0_T1_T2_T3_T4_SL_jT5_PKSL_NS1_7vsmem_tE.kd
    .uniform_work_group_size: 1
    .uses_dynamic_stack: false
    .vgpr_count:     35
    .vgpr_spill_count: 0
    .wavefront_size: 64
  - .agpr_count:     0
    .args:
      - .address_space:  global
        .offset:         0
        .size:           8
        .value_kind:     global_buffer
      - .address_space:  global
        .offset:         8
        .size:           8
        .value_kind:     global_buffer
      - .address_space:  global
        .offset:         16
        .size:           8
        .value_kind:     global_buffer
      - .address_space:  global
        .offset:         24
        .size:           8
        .value_kind:     global_buffer
      - .offset:         32
        .size:           4
        .value_kind:     by_value
      - .offset:         36
        .size:           4
        .value_kind:     by_value
      - .offset:         40
        .size:           1
        .value_kind:     by_value
    .group_segment_fixed_size: 0
    .kernarg_segment_align: 8
    .kernarg_segment_size: 44
    .language:       OpenCL C
    .language_version:
      - 2
      - 0
    .max_flat_workgroup_size: 256
    .name:           _ZN7rocprim17ROCPRIM_304000_NS6detail33device_block_merge_oddeven_kernelINS1_37wrapped_merge_sort_block_merge_configINS0_14default_configEiN2at4cuda3cub6detail10OpaqueTypeILi1EEEEEPiSC_PSA_SD_jNS1_19radix_merge_compareILb1ELb0EiNS0_19identity_decomposerEEEEEvT0_T1_T2_T3_T4_SL_T5_
    .private_segment_fixed_size: 0
    .sgpr_count:     26
    .sgpr_spill_count: 0
    .symbol:         _ZN7rocprim17ROCPRIM_304000_NS6detail33device_block_merge_oddeven_kernelINS1_37wrapped_merge_sort_block_merge_configINS0_14default_configEiN2at4cuda3cub6detail10OpaqueTypeILi1EEEEEPiSC_PSA_SD_jNS1_19radix_merge_compareILb1ELb0EiNS0_19identity_decomposerEEEEEvT0_T1_T2_T3_T4_SL_T5_.kd
    .uniform_work_group_size: 1
    .uses_dynamic_stack: false
    .vgpr_count:     10
    .vgpr_spill_count: 0
    .wavefront_size: 64
  - .agpr_count:     0
    .args:
      - .address_space:  global
        .offset:         0
        .size:           8
        .value_kind:     global_buffer
      - .offset:         8
        .size:           8
        .value_kind:     by_value
      - .address_space:  global
        .offset:         16
        .size:           8
        .value_kind:     global_buffer
      - .offset:         24
        .size:           1
        .value_kind:     by_value
      - .offset:         32
        .size:           4
        .value_kind:     hidden_block_count_x
      - .offset:         36
        .size:           4
        .value_kind:     hidden_block_count_y
      - .offset:         40
        .size:           4
        .value_kind:     hidden_block_count_z
      - .offset:         44
        .size:           2
        .value_kind:     hidden_group_size_x
      - .offset:         46
        .size:           2
        .value_kind:     hidden_group_size_y
      - .offset:         48
        .size:           2
        .value_kind:     hidden_group_size_z
      - .offset:         50
        .size:           2
        .value_kind:     hidden_remainder_x
      - .offset:         52
        .size:           2
        .value_kind:     hidden_remainder_y
      - .offset:         54
        .size:           2
        .value_kind:     hidden_remainder_z
      - .offset:         72
        .size:           8
        .value_kind:     hidden_global_offset_x
      - .offset:         80
        .size:           8
        .value_kind:     hidden_global_offset_y
      - .offset:         88
        .size:           8
        .value_kind:     hidden_global_offset_z
      - .offset:         96
        .size:           2
        .value_kind:     hidden_grid_dims
    .group_segment_fixed_size: 0
    .kernarg_segment_align: 8
    .kernarg_segment_size: 288
    .language:       OpenCL C
    .language_version:
      - 2
      - 0
    .max_flat_workgroup_size: 128
    .name:           _ZN7rocprim17ROCPRIM_304000_NS6detail16transform_kernelINS1_24wrapped_transform_configINS0_14default_configEiEEiPiS6_NS0_8identityIiEEEEvT1_mT2_T3_
    .private_segment_fixed_size: 0
    .sgpr_count:     18
    .sgpr_spill_count: 0
    .symbol:         _ZN7rocprim17ROCPRIM_304000_NS6detail16transform_kernelINS1_24wrapped_transform_configINS0_14default_configEiEEiPiS6_NS0_8identityIiEEEEvT1_mT2_T3_.kd
    .uniform_work_group_size: 1
    .uses_dynamic_stack: false
    .vgpr_count:     10
    .vgpr_spill_count: 0
    .wavefront_size: 64
  - .agpr_count:     0
    .args:
      - .address_space:  global
        .offset:         0
        .size:           8
        .value_kind:     global_buffer
      - .offset:         8
        .size:           8
        .value_kind:     by_value
      - .address_space:  global
        .offset:         16
        .size:           8
        .value_kind:     global_buffer
      - .offset:         24
        .size:           1
        .value_kind:     by_value
      - .offset:         32
        .size:           4
        .value_kind:     hidden_block_count_x
      - .offset:         36
        .size:           4
        .value_kind:     hidden_block_count_y
      - .offset:         40
        .size:           4
        .value_kind:     hidden_block_count_z
      - .offset:         44
        .size:           2
        .value_kind:     hidden_group_size_x
      - .offset:         46
        .size:           2
        .value_kind:     hidden_group_size_y
      - .offset:         48
        .size:           2
        .value_kind:     hidden_group_size_z
      - .offset:         50
        .size:           2
        .value_kind:     hidden_remainder_x
      - .offset:         52
        .size:           2
        .value_kind:     hidden_remainder_y
      - .offset:         54
        .size:           2
        .value_kind:     hidden_remainder_z
      - .offset:         72
        .size:           8
        .value_kind:     hidden_global_offset_x
      - .offset:         80
        .size:           8
        .value_kind:     hidden_global_offset_y
      - .offset:         88
        .size:           8
        .value_kind:     hidden_global_offset_z
      - .offset:         96
        .size:           2
        .value_kind:     hidden_grid_dims
    .group_segment_fixed_size: 0
    .kernarg_segment_align: 8
    .kernarg_segment_size: 288
    .language:       OpenCL C
    .language_version:
      - 2
      - 0
    .max_flat_workgroup_size: 128
    .name:           _ZN7rocprim17ROCPRIM_304000_NS6detail16transform_kernelINS1_24wrapped_transform_configINS0_14default_configEN2at4cuda3cub6detail10OpaqueTypeILi1EEEEESA_PSA_SC_NS0_8identityISA_EEEEvT1_mT2_T3_
    .private_segment_fixed_size: 0
    .sgpr_count:     25
    .sgpr_spill_count: 0
    .symbol:         _ZN7rocprim17ROCPRIM_304000_NS6detail16transform_kernelINS1_24wrapped_transform_configINS0_14default_configEN2at4cuda3cub6detail10OpaqueTypeILi1EEEEESA_PSA_SC_NS0_8identityISA_EEEEvT1_mT2_T3_.kd
    .uniform_work_group_size: 1
    .uses_dynamic_stack: false
    .vgpr_count:     14
    .vgpr_spill_count: 0
    .wavefront_size: 64
  - .agpr_count:     0
    .args:
      - .address_space:  global
        .offset:         0
        .size:           8
        .value_kind:     global_buffer
      - .offset:         8
        .size:           4
        .value_kind:     by_value
      - .offset:         12
        .size:           4
        .value_kind:     by_value
      - .address_space:  global
        .offset:         16
        .size:           8
        .value_kind:     global_buffer
      - .offset:         24
        .size:           4
        .value_kind:     by_value
      - .offset:         28
        .size:           4
        .value_kind:     by_value
    .group_segment_fixed_size: 0
    .kernarg_segment_align: 8
    .kernarg_segment_size: 32
    .language:       OpenCL C
    .language_version:
      - 2
      - 0
    .max_flat_workgroup_size: 128
    .name:           _ZN7rocprim17ROCPRIM_304000_NS6detail45device_block_merge_mergepath_partition_kernelINS1_37wrapped_merge_sort_block_merge_configINS0_14default_configEiN2at4cuda3cub6detail10OpaqueTypeILi1EEEEEPijNS1_19radix_merge_compareILb1ELb1EiNS0_19identity_decomposerEEEEEvT0_T1_jPSH_T2_SH_
    .private_segment_fixed_size: 0
    .sgpr_count:     14
    .sgpr_spill_count: 0
    .symbol:         _ZN7rocprim17ROCPRIM_304000_NS6detail45device_block_merge_mergepath_partition_kernelINS1_37wrapped_merge_sort_block_merge_configINS0_14default_configEiN2at4cuda3cub6detail10OpaqueTypeILi1EEEEEPijNS1_19radix_merge_compareILb1ELb1EiNS0_19identity_decomposerEEEEEvT0_T1_jPSH_T2_SH_.kd
    .uniform_work_group_size: 1
    .uses_dynamic_stack: false
    .vgpr_count:     17
    .vgpr_spill_count: 0
    .wavefront_size: 64
  - .agpr_count:     0
    .args:
      - .address_space:  global
        .offset:         0
        .size:           8
        .value_kind:     global_buffer
      - .address_space:  global
        .offset:         8
        .size:           8
        .value_kind:     global_buffer
      - .address_space:  global
        .offset:         16
        .size:           8
        .value_kind:     global_buffer
      - .address_space:  global
        .offset:         24
        .size:           8
        .value_kind:     global_buffer
      - .offset:         32
        .size:           4
        .value_kind:     by_value
      - .offset:         36
        .size:           4
        .value_kind:     by_value
      - .offset:         40
        .size:           4
        .value_kind:     by_value
      - .offset:         44
        .size:           4
        .value_kind:     by_value
      - .address_space:  global
        .offset:         48
        .size:           8
        .value_kind:     global_buffer
      - .address_space:  global
        .offset:         56
        .size:           8
        .value_kind:     global_buffer
      - .offset:         64
        .size:           4
        .value_kind:     hidden_block_count_x
      - .offset:         68
        .size:           4
        .value_kind:     hidden_block_count_y
      - .offset:         72
        .size:           4
        .value_kind:     hidden_block_count_z
      - .offset:         76
        .size:           2
        .value_kind:     hidden_group_size_x
      - .offset:         78
        .size:           2
        .value_kind:     hidden_group_size_y
      - .offset:         80
        .size:           2
        .value_kind:     hidden_group_size_z
      - .offset:         82
        .size:           2
        .value_kind:     hidden_remainder_x
      - .offset:         84
        .size:           2
        .value_kind:     hidden_remainder_y
      - .offset:         86
        .size:           2
        .value_kind:     hidden_remainder_z
      - .offset:         104
        .size:           8
        .value_kind:     hidden_global_offset_x
      - .offset:         112
        .size:           8
        .value_kind:     hidden_global_offset_y
      - .offset:         120
        .size:           8
        .value_kind:     hidden_global_offset_z
      - .offset:         128
        .size:           2
        .value_kind:     hidden_grid_dims
    .group_segment_fixed_size: 4224
    .kernarg_segment_align: 8
    .kernarg_segment_size: 320
    .language:       OpenCL C
    .language_version:
      - 2
      - 0
    .max_flat_workgroup_size: 128
    .name:           _ZN7rocprim17ROCPRIM_304000_NS6detail35device_block_merge_mergepath_kernelINS1_37wrapped_merge_sort_block_merge_configINS0_14default_configEiN2at4cuda3cub6detail10OpaqueTypeILi1EEEEEPiSC_PSA_SD_jNS1_19radix_merge_compareILb1ELb1EiNS0_19identity_decomposerEEEEEvT0_T1_T2_T3_T4_SL_jT5_PKSL_NS1_7vsmem_tE
    .private_segment_fixed_size: 0
    .sgpr_count:     41
    .sgpr_spill_count: 0
    .symbol:         _ZN7rocprim17ROCPRIM_304000_NS6detail35device_block_merge_mergepath_kernelINS1_37wrapped_merge_sort_block_merge_configINS0_14default_configEiN2at4cuda3cub6detail10OpaqueTypeILi1EEEEEPiSC_PSA_SD_jNS1_19radix_merge_compareILb1ELb1EiNS0_19identity_decomposerEEEEEvT0_T1_T2_T3_T4_SL_jT5_PKSL_NS1_7vsmem_tE.kd
    .uniform_work_group_size: 1
    .uses_dynamic_stack: false
    .vgpr_count:     35
    .vgpr_spill_count: 0
    .wavefront_size: 64
  - .agpr_count:     0
    .args:
      - .address_space:  global
        .offset:         0
        .size:           8
        .value_kind:     global_buffer
      - .address_space:  global
        .offset:         8
        .size:           8
        .value_kind:     global_buffer
      - .address_space:  global
        .offset:         16
        .size:           8
        .value_kind:     global_buffer
      - .address_space:  global
        .offset:         24
        .size:           8
        .value_kind:     global_buffer
      - .offset:         32
        .size:           4
        .value_kind:     by_value
      - .offset:         36
        .size:           4
        .value_kind:     by_value
      - .offset:         40
        .size:           4
        .value_kind:     by_value
    .group_segment_fixed_size: 0
    .kernarg_segment_align: 8
    .kernarg_segment_size: 44
    .language:       OpenCL C
    .language_version:
      - 2
      - 0
    .max_flat_workgroup_size: 256
    .name:           _ZN7rocprim17ROCPRIM_304000_NS6detail33device_block_merge_oddeven_kernelINS1_37wrapped_merge_sort_block_merge_configINS0_14default_configEiN2at4cuda3cub6detail10OpaqueTypeILi1EEEEEPiSC_PSA_SD_jNS1_19radix_merge_compareILb1ELb1EiNS0_19identity_decomposerEEEEEvT0_T1_T2_T3_T4_SL_T5_
    .private_segment_fixed_size: 0
    .sgpr_count:     28
    .sgpr_spill_count: 0
    .symbol:         _ZN7rocprim17ROCPRIM_304000_NS6detail33device_block_merge_oddeven_kernelINS1_37wrapped_merge_sort_block_merge_configINS0_14default_configEiN2at4cuda3cub6detail10OpaqueTypeILi1EEEEEPiSC_PSA_SD_jNS1_19radix_merge_compareILb1ELb1EiNS0_19identity_decomposerEEEEEvT0_T1_T2_T3_T4_SL_T5_.kd
    .uniform_work_group_size: 1
    .uses_dynamic_stack: false
    .vgpr_count:     11
    .vgpr_spill_count: 0
    .wavefront_size: 64
  - .agpr_count:     0
    .args:
      - .address_space:  global
        .offset:         0
        .size:           8
        .value_kind:     global_buffer
      - .address_space:  global
        .offset:         8
        .size:           8
        .value_kind:     global_buffer
      - .offset:         16
        .size:           8
        .value_kind:     by_value
      - .offset:         24
        .size:           8
        .value_kind:     by_value
      - .offset:         32
        .size:           1
        .value_kind:     by_value
      - .offset:         36
        .size:           4
        .value_kind:     by_value
      - .offset:         40
        .size:           4
        .value_kind:     by_value
    .group_segment_fixed_size: 16384
    .kernarg_segment_align: 8
    .kernarg_segment_size: 44
    .language:       OpenCL C
    .language_version:
      - 2
      - 0
    .max_flat_workgroup_size: 256
    .name:           _ZN7rocprim17ROCPRIM_304000_NS6detail26onesweep_histograms_kernelINS1_34wrapped_radix_sort_onesweep_configINS0_14default_configEiN2at4cuda3cub6detail10OpaqueTypeILi1EEEEELb1EPKimNS0_19identity_decomposerEEEvT1_PT2_SG_SG_T3_jj
    .private_segment_fixed_size: 0
    .sgpr_count:     65
    .sgpr_spill_count: 0
    .symbol:         _ZN7rocprim17ROCPRIM_304000_NS6detail26onesweep_histograms_kernelINS1_34wrapped_radix_sort_onesweep_configINS0_14default_configEiN2at4cuda3cub6detail10OpaqueTypeILi1EEEEELb1EPKimNS0_19identity_decomposerEEEvT1_PT2_SG_SG_T3_jj.kd
    .uniform_work_group_size: 1
    .uses_dynamic_stack: false
    .vgpr_count:     32
    .vgpr_spill_count: 0
    .wavefront_size: 64
  - .agpr_count:     0
    .args:
      - .address_space:  global
        .offset:         0
        .size:           8
        .value_kind:     global_buffer
    .group_segment_fixed_size: 32
    .kernarg_segment_align: 8
    .kernarg_segment_size: 8
    .language:       OpenCL C
    .language_version:
      - 2
      - 0
    .max_flat_workgroup_size: 256
    .name:           _ZN7rocprim17ROCPRIM_304000_NS6detail31onesweep_scan_histograms_kernelINS1_34wrapped_radix_sort_onesweep_configINS0_14default_configEiN2at4cuda3cub6detail10OpaqueTypeILi1EEEEEmEEvPT0_
    .private_segment_fixed_size: 0
    .sgpr_count:     16
    .sgpr_spill_count: 0
    .symbol:         _ZN7rocprim17ROCPRIM_304000_NS6detail31onesweep_scan_histograms_kernelINS1_34wrapped_radix_sort_onesweep_configINS0_14default_configEiN2at4cuda3cub6detail10OpaqueTypeILi1EEEEEmEEvPT0_.kd
    .uniform_work_group_size: 1
    .uses_dynamic_stack: false
    .vgpr_count:     14
    .vgpr_spill_count: 0
    .wavefront_size: 64
  - .agpr_count:     0
    .args:
      - .address_space:  global
        .offset:         0
        .size:           8
        .value_kind:     global_buffer
      - .offset:         8
        .size:           8
        .value_kind:     by_value
      - .address_space:  global
        .offset:         16
        .size:           8
        .value_kind:     global_buffer
      - .offset:         24
        .size:           1
        .value_kind:     by_value
      - .offset:         32
        .size:           4
        .value_kind:     hidden_block_count_x
      - .offset:         36
        .size:           4
        .value_kind:     hidden_block_count_y
      - .offset:         40
        .size:           4
        .value_kind:     hidden_block_count_z
      - .offset:         44
        .size:           2
        .value_kind:     hidden_group_size_x
      - .offset:         46
        .size:           2
        .value_kind:     hidden_group_size_y
      - .offset:         48
        .size:           2
        .value_kind:     hidden_group_size_z
      - .offset:         50
        .size:           2
        .value_kind:     hidden_remainder_x
      - .offset:         52
        .size:           2
        .value_kind:     hidden_remainder_y
      - .offset:         54
        .size:           2
        .value_kind:     hidden_remainder_z
      - .offset:         72
        .size:           8
        .value_kind:     hidden_global_offset_x
      - .offset:         80
        .size:           8
        .value_kind:     hidden_global_offset_y
      - .offset:         88
        .size:           8
        .value_kind:     hidden_global_offset_z
      - .offset:         96
        .size:           2
        .value_kind:     hidden_grid_dims
    .group_segment_fixed_size: 0
    .kernarg_segment_align: 8
    .kernarg_segment_size: 288
    .language:       OpenCL C
    .language_version:
      - 2
      - 0
    .max_flat_workgroup_size: 128
    .name:           _ZN7rocprim17ROCPRIM_304000_NS6detail16transform_kernelINS1_24wrapped_transform_configINS0_14default_configEiEEiPKiPiNS0_8identityIiEEEEvT1_mT2_T3_
    .private_segment_fixed_size: 0
    .sgpr_count:     18
    .sgpr_spill_count: 0
    .symbol:         _ZN7rocprim17ROCPRIM_304000_NS6detail16transform_kernelINS1_24wrapped_transform_configINS0_14default_configEiEEiPKiPiNS0_8identityIiEEEEvT1_mT2_T3_.kd
    .uniform_work_group_size: 1
    .uses_dynamic_stack: false
    .vgpr_count:     10
    .vgpr_spill_count: 0
    .wavefront_size: 64
  - .agpr_count:     0
    .args:
      - .address_space:  global
        .offset:         0
        .size:           8
        .value_kind:     global_buffer
      - .offset:         8
        .size:           8
        .value_kind:     by_value
      - .address_space:  global
        .offset:         16
        .size:           8
        .value_kind:     global_buffer
      - .offset:         24
        .size:           1
        .value_kind:     by_value
      - .offset:         32
        .size:           4
        .value_kind:     hidden_block_count_x
      - .offset:         36
        .size:           4
        .value_kind:     hidden_block_count_y
      - .offset:         40
        .size:           4
        .value_kind:     hidden_block_count_z
      - .offset:         44
        .size:           2
        .value_kind:     hidden_group_size_x
      - .offset:         46
        .size:           2
        .value_kind:     hidden_group_size_y
      - .offset:         48
        .size:           2
        .value_kind:     hidden_group_size_z
      - .offset:         50
        .size:           2
        .value_kind:     hidden_remainder_x
      - .offset:         52
        .size:           2
        .value_kind:     hidden_remainder_y
      - .offset:         54
        .size:           2
        .value_kind:     hidden_remainder_z
      - .offset:         72
        .size:           8
        .value_kind:     hidden_global_offset_x
      - .offset:         80
        .size:           8
        .value_kind:     hidden_global_offset_y
      - .offset:         88
        .size:           8
        .value_kind:     hidden_global_offset_z
      - .offset:         96
        .size:           2
        .value_kind:     hidden_grid_dims
    .group_segment_fixed_size: 0
    .kernarg_segment_align: 8
    .kernarg_segment_size: 288
    .language:       OpenCL C
    .language_version:
      - 2
      - 0
    .max_flat_workgroup_size: 128
    .name:           _ZN7rocprim17ROCPRIM_304000_NS6detail16transform_kernelINS1_24wrapped_transform_configINS0_14default_configEN2at4cuda3cub6detail10OpaqueTypeILi1EEEEESA_PKSA_PSA_NS0_8identityISA_EEEEvT1_mT2_T3_
    .private_segment_fixed_size: 0
    .sgpr_count:     25
    .sgpr_spill_count: 0
    .symbol:         _ZN7rocprim17ROCPRIM_304000_NS6detail16transform_kernelINS1_24wrapped_transform_configINS0_14default_configEN2at4cuda3cub6detail10OpaqueTypeILi1EEEEESA_PKSA_PSA_NS0_8identityISA_EEEEvT1_mT2_T3_.kd
    .uniform_work_group_size: 1
    .uses_dynamic_stack: false
    .vgpr_count:     14
    .vgpr_spill_count: 0
    .wavefront_size: 64
  - .agpr_count:     0
    .args:
      - .address_space:  global
        .offset:         0
        .size:           8
        .value_kind:     global_buffer
      - .address_space:  global
        .offset:         8
        .size:           8
        .value_kind:     global_buffer
      - .address_space:  global
        .offset:         16
        .size:           8
        .value_kind:     global_buffer
      - .address_space:  global
        .offset:         24
        .size:           8
        .value_kind:     global_buffer
      - .offset:         32
        .size:           4
        .value_kind:     by_value
      - .address_space:  global
        .offset:         40
        .size:           8
        .value_kind:     global_buffer
      - .address_space:  global
        .offset:         48
        .size:           8
        .value_kind:     global_buffer
      - .address_space:  global
        .offset:         56
        .size:           8
        .value_kind:     global_buffer
      - .offset:         64
        .size:           1
        .value_kind:     by_value
      - .offset:         68
        .size:           4
        .value_kind:     by_value
      - .offset:         72
        .size:           4
        .value_kind:     by_value
      - .offset:         76
        .size:           4
        .value_kind:     by_value
      - .offset:         80
        .size:           4
        .value_kind:     hidden_block_count_x
      - .offset:         84
        .size:           4
        .value_kind:     hidden_block_count_y
      - .offset:         88
        .size:           4
        .value_kind:     hidden_block_count_z
      - .offset:         92
        .size:           2
        .value_kind:     hidden_group_size_x
      - .offset:         94
        .size:           2
        .value_kind:     hidden_group_size_y
      - .offset:         96
        .size:           2
        .value_kind:     hidden_group_size_z
      - .offset:         98
        .size:           2
        .value_kind:     hidden_remainder_x
      - .offset:         100
        .size:           2
        .value_kind:     hidden_remainder_y
      - .offset:         102
        .size:           2
        .value_kind:     hidden_remainder_z
      - .offset:         120
        .size:           8
        .value_kind:     hidden_global_offset_x
      - .offset:         128
        .size:           8
        .value_kind:     hidden_global_offset_y
      - .offset:         136
        .size:           8
        .value_kind:     hidden_global_offset_z
      - .offset:         144
        .size:           2
        .value_kind:     hidden_grid_dims
    .group_segment_fixed_size: 24576
    .kernarg_segment_align: 8
    .kernarg_segment_size: 336
    .language:       OpenCL C
    .language_version:
      - 2
      - 0
    .max_flat_workgroup_size: 256
    .name:           _ZN7rocprim17ROCPRIM_304000_NS6detail25onesweep_iteration_kernelINS1_34wrapped_radix_sort_onesweep_configINS0_14default_configEiN2at4cuda3cub6detail10OpaqueTypeILi1EEEEELb1EPKiPiPKSA_PSA_mNS0_19identity_decomposerEEEvT1_T2_T3_T4_jPT5_SO_PNS1_23onesweep_lookback_stateET6_jjj
    .private_segment_fixed_size: 0
    .sgpr_count:     106
    .sgpr_spill_count: 16
    .symbol:         _ZN7rocprim17ROCPRIM_304000_NS6detail25onesweep_iteration_kernelINS1_34wrapped_radix_sort_onesweep_configINS0_14default_configEiN2at4cuda3cub6detail10OpaqueTypeILi1EEEEELb1EPKiPiPKSA_PSA_mNS0_19identity_decomposerEEEvT1_T2_T3_T4_jPT5_SO_PNS1_23onesweep_lookback_stateET6_jjj.kd
    .uniform_work_group_size: 1
    .uses_dynamic_stack: false
    .vgpr_count:     105
    .vgpr_spill_count: 0
    .wavefront_size: 64
  - .agpr_count:     0
    .args:
      - .address_space:  global
        .offset:         0
        .size:           8
        .value_kind:     global_buffer
      - .address_space:  global
        .offset:         8
        .size:           8
        .value_kind:     global_buffer
      - .address_space:  global
        .offset:         16
        .size:           8
        .value_kind:     global_buffer
      - .address_space:  global
        .offset:         24
        .size:           8
        .value_kind:     global_buffer
      - .offset:         32
        .size:           4
        .value_kind:     by_value
      - .address_space:  global
        .offset:         40
        .size:           8
        .value_kind:     global_buffer
      - .address_space:  global
        .offset:         48
        .size:           8
        .value_kind:     global_buffer
      - .address_space:  global
        .offset:         56
        .size:           8
        .value_kind:     global_buffer
      - .offset:         64
        .size:           1
        .value_kind:     by_value
      - .offset:         68
        .size:           4
        .value_kind:     by_value
      - .offset:         72
        .size:           4
        .value_kind:     by_value
      - .offset:         76
        .size:           4
        .value_kind:     by_value
      - .offset:         80
        .size:           4
        .value_kind:     hidden_block_count_x
      - .offset:         84
        .size:           4
        .value_kind:     hidden_block_count_y
      - .offset:         88
        .size:           4
        .value_kind:     hidden_block_count_z
      - .offset:         92
        .size:           2
        .value_kind:     hidden_group_size_x
      - .offset:         94
        .size:           2
        .value_kind:     hidden_group_size_y
      - .offset:         96
        .size:           2
        .value_kind:     hidden_group_size_z
      - .offset:         98
        .size:           2
        .value_kind:     hidden_remainder_x
      - .offset:         100
        .size:           2
        .value_kind:     hidden_remainder_y
      - .offset:         102
        .size:           2
        .value_kind:     hidden_remainder_z
      - .offset:         120
        .size:           8
        .value_kind:     hidden_global_offset_x
      - .offset:         128
        .size:           8
        .value_kind:     hidden_global_offset_y
      - .offset:         136
        .size:           8
        .value_kind:     hidden_global_offset_z
      - .offset:         144
        .size:           2
        .value_kind:     hidden_grid_dims
    .group_segment_fixed_size: 24576
    .kernarg_segment_align: 8
    .kernarg_segment_size: 336
    .language:       OpenCL C
    .language_version:
      - 2
      - 0
    .max_flat_workgroup_size: 256
    .name:           _ZN7rocprim17ROCPRIM_304000_NS6detail25onesweep_iteration_kernelINS1_34wrapped_radix_sort_onesweep_configINS0_14default_configEiN2at4cuda3cub6detail10OpaqueTypeILi1EEEEELb1EPiSC_PSA_SD_mNS0_19identity_decomposerEEEvT1_T2_T3_T4_jPT5_SK_PNS1_23onesweep_lookback_stateET6_jjj
    .private_segment_fixed_size: 0
    .sgpr_count:     106
    .sgpr_spill_count: 16
    .symbol:         _ZN7rocprim17ROCPRIM_304000_NS6detail25onesweep_iteration_kernelINS1_34wrapped_radix_sort_onesweep_configINS0_14default_configEiN2at4cuda3cub6detail10OpaqueTypeILi1EEEEELb1EPiSC_PSA_SD_mNS0_19identity_decomposerEEEvT1_T2_T3_T4_jPT5_SK_PNS1_23onesweep_lookback_stateET6_jjj.kd
    .uniform_work_group_size: 1
    .uses_dynamic_stack: false
    .vgpr_count:     105
    .vgpr_spill_count: 0
    .wavefront_size: 64
  - .agpr_count:     0
    .args:
      - .address_space:  global
        .offset:         0
        .size:           8
        .value_kind:     global_buffer
      - .address_space:  global
        .offset:         8
        .size:           8
        .value_kind:     global_buffer
      - .address_space:  global
        .offset:         16
        .size:           8
        .value_kind:     global_buffer
      - .address_space:  global
        .offset:         24
        .size:           8
        .value_kind:     global_buffer
      - .offset:         32
        .size:           4
        .value_kind:     by_value
      - .offset:         36
        .size:           1
        .value_kind:     by_value
      - .offset:         40
        .size:           4
        .value_kind:     by_value
      - .offset:         44
        .size:           4
        .value_kind:     by_value
      - .offset:         48
        .size:           4
        .value_kind:     hidden_block_count_x
      - .offset:         52
        .size:           4
        .value_kind:     hidden_block_count_y
      - .offset:         56
        .size:           4
        .value_kind:     hidden_block_count_z
      - .offset:         60
        .size:           2
        .value_kind:     hidden_group_size_x
      - .offset:         62
        .size:           2
        .value_kind:     hidden_group_size_y
      - .offset:         64
        .size:           2
        .value_kind:     hidden_group_size_z
      - .offset:         66
        .size:           2
        .value_kind:     hidden_remainder_x
      - .offset:         68
        .size:           2
        .value_kind:     hidden_remainder_y
      - .offset:         70
        .size:           2
        .value_kind:     hidden_remainder_z
      - .offset:         88
        .size:           8
        .value_kind:     hidden_global_offset_x
      - .offset:         96
        .size:           8
        .value_kind:     hidden_global_offset_y
      - .offset:         104
        .size:           8
        .value_kind:     hidden_global_offset_z
      - .offset:         112
        .size:           2
        .value_kind:     hidden_grid_dims
    .group_segment_fixed_size: 4112
    .kernarg_segment_align: 8
    .kernarg_segment_size: 304
    .language:       OpenCL C
    .language_version:
      - 2
      - 0
    .max_flat_workgroup_size: 256
    .name:           _ZN7rocprim17ROCPRIM_304000_NS6detail28radix_sort_block_sort_kernelINS1_36wrapped_radix_sort_block_sort_configINS0_13kernel_configILj256ELj4ELj4294967295EEEiN2at4cuda3cub6detail10OpaqueTypeILi1EEEEELb0EPKiPiPKSB_PSB_NS0_19identity_decomposerEEEvT1_T2_T3_T4_jT5_jj
    .private_segment_fixed_size: 0
    .sgpr_count:     52
    .sgpr_spill_count: 0
    .symbol:         _ZN7rocprim17ROCPRIM_304000_NS6detail28radix_sort_block_sort_kernelINS1_36wrapped_radix_sort_block_sort_configINS0_13kernel_configILj256ELj4ELj4294967295EEEiN2at4cuda3cub6detail10OpaqueTypeILi1EEEEELb0EPKiPiPKSB_PSB_NS0_19identity_decomposerEEEvT1_T2_T3_T4_jT5_jj.kd
    .uniform_work_group_size: 1
    .uses_dynamic_stack: false
    .vgpr_count:     47
    .vgpr_spill_count: 0
    .wavefront_size: 64
  - .agpr_count:     0
    .args:
      - .address_space:  global
        .offset:         0
        .size:           8
        .value_kind:     global_buffer
      - .offset:         8
        .size:           4
        .value_kind:     by_value
      - .offset:         12
        .size:           4
        .value_kind:     by_value
      - .address_space:  global
        .offset:         16
        .size:           8
        .value_kind:     global_buffer
      - .offset:         24
        .size:           1
        .value_kind:     by_value
      - .offset:         28
        .size:           4
        .value_kind:     by_value
    .group_segment_fixed_size: 0
    .kernarg_segment_align: 8
    .kernarg_segment_size: 32
    .language:       OpenCL C
    .language_version:
      - 2
      - 0
    .max_flat_workgroup_size: 128
    .name:           _ZN7rocprim17ROCPRIM_304000_NS6detail45device_block_merge_mergepath_partition_kernelINS1_37wrapped_merge_sort_block_merge_configINS0_14default_configEiN2at4cuda3cub6detail10OpaqueTypeILi1EEEEEPijNS1_19radix_merge_compareILb0ELb0EiNS0_19identity_decomposerEEEEEvT0_T1_jPSH_T2_SH_
    .private_segment_fixed_size: 0
    .sgpr_count:     12
    .sgpr_spill_count: 0
    .symbol:         _ZN7rocprim17ROCPRIM_304000_NS6detail45device_block_merge_mergepath_partition_kernelINS1_37wrapped_merge_sort_block_merge_configINS0_14default_configEiN2at4cuda3cub6detail10OpaqueTypeILi1EEEEEPijNS1_19radix_merge_compareILb0ELb0EiNS0_19identity_decomposerEEEEEvT0_T1_jPSH_T2_SH_.kd
    .uniform_work_group_size: 1
    .uses_dynamic_stack: false
    .vgpr_count:     17
    .vgpr_spill_count: 0
    .wavefront_size: 64
  - .agpr_count:     0
    .args:
      - .address_space:  global
        .offset:         0
        .size:           8
        .value_kind:     global_buffer
      - .address_space:  global
        .offset:         8
        .size:           8
        .value_kind:     global_buffer
      - .address_space:  global
        .offset:         16
        .size:           8
        .value_kind:     global_buffer
      - .address_space:  global
        .offset:         24
        .size:           8
        .value_kind:     global_buffer
      - .offset:         32
        .size:           4
        .value_kind:     by_value
      - .offset:         36
        .size:           4
        .value_kind:     by_value
      - .offset:         40
        .size:           4
        .value_kind:     by_value
      - .offset:         44
        .size:           1
        .value_kind:     by_value
      - .address_space:  global
        .offset:         48
        .size:           8
        .value_kind:     global_buffer
      - .address_space:  global
        .offset:         56
        .size:           8
        .value_kind:     global_buffer
      - .offset:         64
        .size:           4
        .value_kind:     hidden_block_count_x
      - .offset:         68
        .size:           4
        .value_kind:     hidden_block_count_y
      - .offset:         72
        .size:           4
        .value_kind:     hidden_block_count_z
      - .offset:         76
        .size:           2
        .value_kind:     hidden_group_size_x
      - .offset:         78
        .size:           2
        .value_kind:     hidden_group_size_y
      - .offset:         80
        .size:           2
        .value_kind:     hidden_group_size_z
      - .offset:         82
        .size:           2
        .value_kind:     hidden_remainder_x
      - .offset:         84
        .size:           2
        .value_kind:     hidden_remainder_y
      - .offset:         86
        .size:           2
        .value_kind:     hidden_remainder_z
      - .offset:         104
        .size:           8
        .value_kind:     hidden_global_offset_x
      - .offset:         112
        .size:           8
        .value_kind:     hidden_global_offset_y
      - .offset:         120
        .size:           8
        .value_kind:     hidden_global_offset_z
      - .offset:         128
        .size:           2
        .value_kind:     hidden_grid_dims
    .group_segment_fixed_size: 4224
    .kernarg_segment_align: 8
    .kernarg_segment_size: 320
    .language:       OpenCL C
    .language_version:
      - 2
      - 0
    .max_flat_workgroup_size: 128
    .name:           _ZN7rocprim17ROCPRIM_304000_NS6detail35device_block_merge_mergepath_kernelINS1_37wrapped_merge_sort_block_merge_configINS0_14default_configEiN2at4cuda3cub6detail10OpaqueTypeILi1EEEEEPiSC_PSA_SD_jNS1_19radix_merge_compareILb0ELb0EiNS0_19identity_decomposerEEEEEvT0_T1_T2_T3_T4_SL_jT5_PKSL_NS1_7vsmem_tE
    .private_segment_fixed_size: 0
    .sgpr_count:     40
    .sgpr_spill_count: 0
    .symbol:         _ZN7rocprim17ROCPRIM_304000_NS6detail35device_block_merge_mergepath_kernelINS1_37wrapped_merge_sort_block_merge_configINS0_14default_configEiN2at4cuda3cub6detail10OpaqueTypeILi1EEEEEPiSC_PSA_SD_jNS1_19radix_merge_compareILb0ELb0EiNS0_19identity_decomposerEEEEEvT0_T1_T2_T3_T4_SL_jT5_PKSL_NS1_7vsmem_tE.kd
    .uniform_work_group_size: 1
    .uses_dynamic_stack: false
    .vgpr_count:     35
    .vgpr_spill_count: 0
    .wavefront_size: 64
  - .agpr_count:     0
    .args:
      - .address_space:  global
        .offset:         0
        .size:           8
        .value_kind:     global_buffer
      - .address_space:  global
        .offset:         8
        .size:           8
        .value_kind:     global_buffer
      - .address_space:  global
        .offset:         16
        .size:           8
        .value_kind:     global_buffer
      - .address_space:  global
        .offset:         24
        .size:           8
        .value_kind:     global_buffer
      - .offset:         32
        .size:           4
        .value_kind:     by_value
      - .offset:         36
        .size:           4
        .value_kind:     by_value
      - .offset:         40
        .size:           1
        .value_kind:     by_value
    .group_segment_fixed_size: 0
    .kernarg_segment_align: 8
    .kernarg_segment_size: 44
    .language:       OpenCL C
    .language_version:
      - 2
      - 0
    .max_flat_workgroup_size: 256
    .name:           _ZN7rocprim17ROCPRIM_304000_NS6detail33device_block_merge_oddeven_kernelINS1_37wrapped_merge_sort_block_merge_configINS0_14default_configEiN2at4cuda3cub6detail10OpaqueTypeILi1EEEEEPiSC_PSA_SD_jNS1_19radix_merge_compareILb0ELb0EiNS0_19identity_decomposerEEEEEvT0_T1_T2_T3_T4_SL_T5_
    .private_segment_fixed_size: 0
    .sgpr_count:     26
    .sgpr_spill_count: 0
    .symbol:         _ZN7rocprim17ROCPRIM_304000_NS6detail33device_block_merge_oddeven_kernelINS1_37wrapped_merge_sort_block_merge_configINS0_14default_configEiN2at4cuda3cub6detail10OpaqueTypeILi1EEEEEPiSC_PSA_SD_jNS1_19radix_merge_compareILb0ELb0EiNS0_19identity_decomposerEEEEEvT0_T1_T2_T3_T4_SL_T5_.kd
    .uniform_work_group_size: 1
    .uses_dynamic_stack: false
    .vgpr_count:     10
    .vgpr_spill_count: 0
    .wavefront_size: 64
  - .agpr_count:     0
    .args:
      - .address_space:  global
        .offset:         0
        .size:           8
        .value_kind:     global_buffer
      - .offset:         8
        .size:           4
        .value_kind:     by_value
      - .offset:         12
        .size:           4
        .value_kind:     by_value
      - .address_space:  global
        .offset:         16
        .size:           8
        .value_kind:     global_buffer
      - .offset:         24
        .size:           4
        .value_kind:     by_value
      - .offset:         28
        .size:           4
        .value_kind:     by_value
    .group_segment_fixed_size: 0
    .kernarg_segment_align: 8
    .kernarg_segment_size: 32
    .language:       OpenCL C
    .language_version:
      - 2
      - 0
    .max_flat_workgroup_size: 128
    .name:           _ZN7rocprim17ROCPRIM_304000_NS6detail45device_block_merge_mergepath_partition_kernelINS1_37wrapped_merge_sort_block_merge_configINS0_14default_configEiN2at4cuda3cub6detail10OpaqueTypeILi1EEEEEPijNS1_19radix_merge_compareILb0ELb1EiNS0_19identity_decomposerEEEEEvT0_T1_jPSH_T2_SH_
    .private_segment_fixed_size: 0
    .sgpr_count:     14
    .sgpr_spill_count: 0
    .symbol:         _ZN7rocprim17ROCPRIM_304000_NS6detail45device_block_merge_mergepath_partition_kernelINS1_37wrapped_merge_sort_block_merge_configINS0_14default_configEiN2at4cuda3cub6detail10OpaqueTypeILi1EEEEEPijNS1_19radix_merge_compareILb0ELb1EiNS0_19identity_decomposerEEEEEvT0_T1_jPSH_T2_SH_.kd
    .uniform_work_group_size: 1
    .uses_dynamic_stack: false
    .vgpr_count:     17
    .vgpr_spill_count: 0
    .wavefront_size: 64
  - .agpr_count:     0
    .args:
      - .address_space:  global
        .offset:         0
        .size:           8
        .value_kind:     global_buffer
      - .address_space:  global
        .offset:         8
        .size:           8
        .value_kind:     global_buffer
      - .address_space:  global
        .offset:         16
        .size:           8
        .value_kind:     global_buffer
      - .address_space:  global
        .offset:         24
        .size:           8
        .value_kind:     global_buffer
      - .offset:         32
        .size:           4
        .value_kind:     by_value
      - .offset:         36
        .size:           4
        .value_kind:     by_value
      - .offset:         40
        .size:           4
        .value_kind:     by_value
      - .offset:         44
        .size:           4
        .value_kind:     by_value
      - .address_space:  global
        .offset:         48
        .size:           8
        .value_kind:     global_buffer
      - .address_space:  global
        .offset:         56
        .size:           8
        .value_kind:     global_buffer
      - .offset:         64
        .size:           4
        .value_kind:     hidden_block_count_x
      - .offset:         68
        .size:           4
        .value_kind:     hidden_block_count_y
      - .offset:         72
        .size:           4
        .value_kind:     hidden_block_count_z
      - .offset:         76
        .size:           2
        .value_kind:     hidden_group_size_x
      - .offset:         78
        .size:           2
        .value_kind:     hidden_group_size_y
      - .offset:         80
        .size:           2
        .value_kind:     hidden_group_size_z
      - .offset:         82
        .size:           2
        .value_kind:     hidden_remainder_x
      - .offset:         84
        .size:           2
        .value_kind:     hidden_remainder_y
      - .offset:         86
        .size:           2
        .value_kind:     hidden_remainder_z
      - .offset:         104
        .size:           8
        .value_kind:     hidden_global_offset_x
      - .offset:         112
        .size:           8
        .value_kind:     hidden_global_offset_y
      - .offset:         120
        .size:           8
        .value_kind:     hidden_global_offset_z
      - .offset:         128
        .size:           2
        .value_kind:     hidden_grid_dims
    .group_segment_fixed_size: 4224
    .kernarg_segment_align: 8
    .kernarg_segment_size: 320
    .language:       OpenCL C
    .language_version:
      - 2
      - 0
    .max_flat_workgroup_size: 128
    .name:           _ZN7rocprim17ROCPRIM_304000_NS6detail35device_block_merge_mergepath_kernelINS1_37wrapped_merge_sort_block_merge_configINS0_14default_configEiN2at4cuda3cub6detail10OpaqueTypeILi1EEEEEPiSC_PSA_SD_jNS1_19radix_merge_compareILb0ELb1EiNS0_19identity_decomposerEEEEEvT0_T1_T2_T3_T4_SL_jT5_PKSL_NS1_7vsmem_tE
    .private_segment_fixed_size: 0
    .sgpr_count:     41
    .sgpr_spill_count: 0
    .symbol:         _ZN7rocprim17ROCPRIM_304000_NS6detail35device_block_merge_mergepath_kernelINS1_37wrapped_merge_sort_block_merge_configINS0_14default_configEiN2at4cuda3cub6detail10OpaqueTypeILi1EEEEEPiSC_PSA_SD_jNS1_19radix_merge_compareILb0ELb1EiNS0_19identity_decomposerEEEEEvT0_T1_T2_T3_T4_SL_jT5_PKSL_NS1_7vsmem_tE.kd
    .uniform_work_group_size: 1
    .uses_dynamic_stack: false
    .vgpr_count:     35
    .vgpr_spill_count: 0
    .wavefront_size: 64
  - .agpr_count:     0
    .args:
      - .address_space:  global
        .offset:         0
        .size:           8
        .value_kind:     global_buffer
      - .address_space:  global
        .offset:         8
        .size:           8
        .value_kind:     global_buffer
      - .address_space:  global
        .offset:         16
        .size:           8
        .value_kind:     global_buffer
      - .address_space:  global
        .offset:         24
        .size:           8
        .value_kind:     global_buffer
      - .offset:         32
        .size:           4
        .value_kind:     by_value
      - .offset:         36
        .size:           4
        .value_kind:     by_value
      - .offset:         40
        .size:           4
        .value_kind:     by_value
    .group_segment_fixed_size: 0
    .kernarg_segment_align: 8
    .kernarg_segment_size: 44
    .language:       OpenCL C
    .language_version:
      - 2
      - 0
    .max_flat_workgroup_size: 256
    .name:           _ZN7rocprim17ROCPRIM_304000_NS6detail33device_block_merge_oddeven_kernelINS1_37wrapped_merge_sort_block_merge_configINS0_14default_configEiN2at4cuda3cub6detail10OpaqueTypeILi1EEEEEPiSC_PSA_SD_jNS1_19radix_merge_compareILb0ELb1EiNS0_19identity_decomposerEEEEEvT0_T1_T2_T3_T4_SL_T5_
    .private_segment_fixed_size: 0
    .sgpr_count:     28
    .sgpr_spill_count: 0
    .symbol:         _ZN7rocprim17ROCPRIM_304000_NS6detail33device_block_merge_oddeven_kernelINS1_37wrapped_merge_sort_block_merge_configINS0_14default_configEiN2at4cuda3cub6detail10OpaqueTypeILi1EEEEEPiSC_PSA_SD_jNS1_19radix_merge_compareILb0ELb1EiNS0_19identity_decomposerEEEEEvT0_T1_T2_T3_T4_SL_T5_.kd
    .uniform_work_group_size: 1
    .uses_dynamic_stack: false
    .vgpr_count:     11
    .vgpr_spill_count: 0
    .wavefront_size: 64
  - .agpr_count:     0
    .args:
      - .address_space:  global
        .offset:         0
        .size:           8
        .value_kind:     global_buffer
      - .address_space:  global
        .offset:         8
        .size:           8
        .value_kind:     global_buffer
      - .offset:         16
        .size:           8
        .value_kind:     by_value
      - .offset:         24
        .size:           8
        .value_kind:     by_value
      - .offset:         32
        .size:           1
        .value_kind:     by_value
      - .offset:         36
        .size:           4
        .value_kind:     by_value
      - .offset:         40
        .size:           4
        .value_kind:     by_value
    .group_segment_fixed_size: 16384
    .kernarg_segment_align: 8
    .kernarg_segment_size: 44
    .language:       OpenCL C
    .language_version:
      - 2
      - 0
    .max_flat_workgroup_size: 256
    .name:           _ZN7rocprim17ROCPRIM_304000_NS6detail26onesweep_histograms_kernelINS1_34wrapped_radix_sort_onesweep_configINS0_14default_configEiN2at4cuda3cub6detail10OpaqueTypeILi1EEEEELb0EPKimNS0_19identity_decomposerEEEvT1_PT2_SG_SG_T3_jj
    .private_segment_fixed_size: 0
    .sgpr_count:     65
    .sgpr_spill_count: 0
    .symbol:         _ZN7rocprim17ROCPRIM_304000_NS6detail26onesweep_histograms_kernelINS1_34wrapped_radix_sort_onesweep_configINS0_14default_configEiN2at4cuda3cub6detail10OpaqueTypeILi1EEEEELb0EPKimNS0_19identity_decomposerEEEvT1_PT2_SG_SG_T3_jj.kd
    .uniform_work_group_size: 1
    .uses_dynamic_stack: false
    .vgpr_count:     32
    .vgpr_spill_count: 0
    .wavefront_size: 64
  - .agpr_count:     0
    .args:
      - .address_space:  global
        .offset:         0
        .size:           8
        .value_kind:     global_buffer
      - .address_space:  global
        .offset:         8
        .size:           8
        .value_kind:     global_buffer
      - .address_space:  global
        .offset:         16
        .size:           8
        .value_kind:     global_buffer
      - .address_space:  global
        .offset:         24
        .size:           8
        .value_kind:     global_buffer
      - .offset:         32
        .size:           4
        .value_kind:     by_value
      - .address_space:  global
        .offset:         40
        .size:           8
        .value_kind:     global_buffer
      - .address_space:  global
        .offset:         48
        .size:           8
        .value_kind:     global_buffer
      - .address_space:  global
        .offset:         56
        .size:           8
        .value_kind:     global_buffer
      - .offset:         64
        .size:           1
        .value_kind:     by_value
      - .offset:         68
        .size:           4
        .value_kind:     by_value
      - .offset:         72
        .size:           4
        .value_kind:     by_value
      - .offset:         76
        .size:           4
        .value_kind:     by_value
      - .offset:         80
        .size:           4
        .value_kind:     hidden_block_count_x
      - .offset:         84
        .size:           4
        .value_kind:     hidden_block_count_y
      - .offset:         88
        .size:           4
        .value_kind:     hidden_block_count_z
      - .offset:         92
        .size:           2
        .value_kind:     hidden_group_size_x
      - .offset:         94
        .size:           2
        .value_kind:     hidden_group_size_y
      - .offset:         96
        .size:           2
        .value_kind:     hidden_group_size_z
      - .offset:         98
        .size:           2
        .value_kind:     hidden_remainder_x
      - .offset:         100
        .size:           2
        .value_kind:     hidden_remainder_y
      - .offset:         102
        .size:           2
        .value_kind:     hidden_remainder_z
      - .offset:         120
        .size:           8
        .value_kind:     hidden_global_offset_x
      - .offset:         128
        .size:           8
        .value_kind:     hidden_global_offset_y
      - .offset:         136
        .size:           8
        .value_kind:     hidden_global_offset_z
      - .offset:         144
        .size:           2
        .value_kind:     hidden_grid_dims
    .group_segment_fixed_size: 24576
    .kernarg_segment_align: 8
    .kernarg_segment_size: 336
    .language:       OpenCL C
    .language_version:
      - 2
      - 0
    .max_flat_workgroup_size: 256
    .name:           _ZN7rocprim17ROCPRIM_304000_NS6detail25onesweep_iteration_kernelINS1_34wrapped_radix_sort_onesweep_configINS0_14default_configEiN2at4cuda3cub6detail10OpaqueTypeILi1EEEEELb0EPKiPiPKSA_PSA_mNS0_19identity_decomposerEEEvT1_T2_T3_T4_jPT5_SO_PNS1_23onesweep_lookback_stateET6_jjj
    .private_segment_fixed_size: 0
    .sgpr_count:     106
    .sgpr_spill_count: 16
    .symbol:         _ZN7rocprim17ROCPRIM_304000_NS6detail25onesweep_iteration_kernelINS1_34wrapped_radix_sort_onesweep_configINS0_14default_configEiN2at4cuda3cub6detail10OpaqueTypeILi1EEEEELb0EPKiPiPKSA_PSA_mNS0_19identity_decomposerEEEvT1_T2_T3_T4_jPT5_SO_PNS1_23onesweep_lookback_stateET6_jjj.kd
    .uniform_work_group_size: 1
    .uses_dynamic_stack: false
    .vgpr_count:     105
    .vgpr_spill_count: 0
    .wavefront_size: 64
  - .agpr_count:     0
    .args:
      - .address_space:  global
        .offset:         0
        .size:           8
        .value_kind:     global_buffer
      - .address_space:  global
        .offset:         8
        .size:           8
        .value_kind:     global_buffer
      - .address_space:  global
        .offset:         16
        .size:           8
        .value_kind:     global_buffer
      - .address_space:  global
        .offset:         24
        .size:           8
        .value_kind:     global_buffer
      - .offset:         32
        .size:           4
        .value_kind:     by_value
      - .address_space:  global
        .offset:         40
        .size:           8
        .value_kind:     global_buffer
      - .address_space:  global
        .offset:         48
        .size:           8
        .value_kind:     global_buffer
      - .address_space:  global
        .offset:         56
        .size:           8
        .value_kind:     global_buffer
      - .offset:         64
        .size:           1
        .value_kind:     by_value
      - .offset:         68
        .size:           4
        .value_kind:     by_value
      - .offset:         72
        .size:           4
        .value_kind:     by_value
      - .offset:         76
        .size:           4
        .value_kind:     by_value
      - .offset:         80
        .size:           4
        .value_kind:     hidden_block_count_x
      - .offset:         84
        .size:           4
        .value_kind:     hidden_block_count_y
      - .offset:         88
        .size:           4
        .value_kind:     hidden_block_count_z
      - .offset:         92
        .size:           2
        .value_kind:     hidden_group_size_x
      - .offset:         94
        .size:           2
        .value_kind:     hidden_group_size_y
      - .offset:         96
        .size:           2
        .value_kind:     hidden_group_size_z
      - .offset:         98
        .size:           2
        .value_kind:     hidden_remainder_x
      - .offset:         100
        .size:           2
        .value_kind:     hidden_remainder_y
      - .offset:         102
        .size:           2
        .value_kind:     hidden_remainder_z
      - .offset:         120
        .size:           8
        .value_kind:     hidden_global_offset_x
      - .offset:         128
        .size:           8
        .value_kind:     hidden_global_offset_y
      - .offset:         136
        .size:           8
        .value_kind:     hidden_global_offset_z
      - .offset:         144
        .size:           2
        .value_kind:     hidden_grid_dims
    .group_segment_fixed_size: 24576
    .kernarg_segment_align: 8
    .kernarg_segment_size: 336
    .language:       OpenCL C
    .language_version:
      - 2
      - 0
    .max_flat_workgroup_size: 256
    .name:           _ZN7rocprim17ROCPRIM_304000_NS6detail25onesweep_iteration_kernelINS1_34wrapped_radix_sort_onesweep_configINS0_14default_configEiN2at4cuda3cub6detail10OpaqueTypeILi1EEEEELb0EPiSC_PSA_SD_mNS0_19identity_decomposerEEEvT1_T2_T3_T4_jPT5_SK_PNS1_23onesweep_lookback_stateET6_jjj
    .private_segment_fixed_size: 0
    .sgpr_count:     106
    .sgpr_spill_count: 16
    .symbol:         _ZN7rocprim17ROCPRIM_304000_NS6detail25onesweep_iteration_kernelINS1_34wrapped_radix_sort_onesweep_configINS0_14default_configEiN2at4cuda3cub6detail10OpaqueTypeILi1EEEEELb0EPiSC_PSA_SD_mNS0_19identity_decomposerEEEvT1_T2_T3_T4_jPT5_SK_PNS1_23onesweep_lookback_stateET6_jjj.kd
    .uniform_work_group_size: 1
    .uses_dynamic_stack: false
    .vgpr_count:     105
    .vgpr_spill_count: 0
    .wavefront_size: 64
amdhsa.target:   amdgcn-amd-amdhsa--gfx950
amdhsa.version:
  - 1
  - 2
...

	.end_amdgpu_metadata
